;; amdgpu-corpus repo=ROCm/rocFFT kind=compiled arch=gfx950 opt=O3
	.text
	.amdgcn_target "amdgcn-amd-amdhsa--gfx950"
	.amdhsa_code_object_version 6
	.protected	bluestein_single_fwd_len1375_dim1_sp_op_CI_CI ; -- Begin function bluestein_single_fwd_len1375_dim1_sp_op_CI_CI
	.globl	bluestein_single_fwd_len1375_dim1_sp_op_CI_CI
	.p2align	8
	.type	bluestein_single_fwd_len1375_dim1_sp_op_CI_CI,@function
bluestein_single_fwd_len1375_dim1_sp_op_CI_CI: ; @bluestein_single_fwd_len1375_dim1_sp_op_CI_CI
; %bb.0:
	s_load_dwordx4 s[8:11], s[0:1], 0x28
	v_mul_u32_u24_e32 v1, 0x4a8, v0
	v_mov_b32_e32 v167, 0
	v_add_u32_sdwa v6, s2, v1 dst_sel:DWORD dst_unused:UNUSED_PAD src0_sel:DWORD src1_sel:WORD_1
	v_mov_b32_e32 v7, v167
	s_waitcnt lgkmcnt(0)
	v_cmp_gt_u64_e32 vcc, s[8:9], v[6:7]
	s_and_saveexec_b64 s[2:3], vcc
	s_cbranch_execz .LBB0_15
; %bb.1:
	s_load_dwordx4 s[4:7], s[0:1], 0x18
	s_load_dwordx2 s[2:3], s[0:1], 0x0
	v_mov_b32_e32 v2, s10
	v_mov_b32_e32 v3, s11
	;; [unrolled: 1-line block ×3, first 2 shown]
	s_waitcnt lgkmcnt(0)
	s_load_dwordx4 s[8:11], s[4:5], 0x0
	v_mul_lo_u16_sdwa v1, v1, v4 dst_sel:DWORD dst_unused:UNUSED_PAD src0_sel:WORD_1 src1_sel:DWORD
	v_sub_u16_e32 v166, v0, v1
	v_accvgpr_write_b32 a28, v6
	v_lshlrev_b32_e32 v178, 3, v166
	s_waitcnt lgkmcnt(0)
	v_mad_u64_u32 v[0:1], s[4:5], s10, v6, 0
	v_mov_b32_e32 v4, v1
	v_mad_u64_u32 v[4:5], s[4:5], s11, v6, v[4:5]
	v_mov_b32_e32 v1, v4
	v_mad_u64_u32 v[4:5], s[4:5], s8, v166, 0
	v_mov_b32_e32 v6, v5
	v_mad_u64_u32 v[6:7], s[4:5], s9, v166, v[6:7]
	v_mov_b32_e32 v5, v6
	v_lshl_add_u64 v[0:1], v[0:1], 3, v[2:3]
	s_mul_i32 s4, s9, 0x7d
	s_mul_hi_u32 s5, s8, 0x7d
	v_lshl_add_u64 v[2:3], v[4:5], 3, v[0:1]
	s_add_i32 s5, s5, s4
	s_mul_i32 s4, s8, 0x7d
	global_load_dwordx2 v[54:55], v178, s[2:3]
	global_load_dwordx2 v[8:9], v[2:3], off
	s_lshl_b64 s[12:13], s[4:5], 3
	v_lshl_add_u64 v[2:3], v[2:3], 0, s[12:13]
	global_load_dwordx2 v[38:39], v178, s[2:3] offset:1000
	global_load_dwordx2 v[10:11], v[2:3], off
	v_lshl_add_u64 v[2:3], v[2:3], 0, s[12:13]
	global_load_dwordx2 v[40:41], v178, s[2:3] offset:2000
	global_load_dwordx2 v[12:13], v[2:3], off
	;; [unrolled: 3-line block ×4, first 2 shown]
	v_mov_b32_e32 v179, v167
	s_movk_i32 s4, 0x1000
	v_lshl_add_u64 v[24:25], s[2:3], 0, v[178:179]
	v_add_co_u32_e32 v2, vcc, s4, v24
	v_lshl_add_u64 v[4:5], v[4:5], 0, s[12:13]
	s_nop 0
	v_addc_co_u32_e32 v3, vcc, 0, v25, vcc
	global_load_dwordx2 v[72:73], v[2:3], off offset:904
	global_load_dwordx2 v[16:17], v[4:5], off
	s_load_dwordx4 s[4:7], s[6:7], 0x0
	global_load_dwordx2 v[48:49], v178, s[2:3] offset:1440
	global_load_dwordx2 v[52:53], v178, s[2:3] offset:440
	;; [unrolled: 1-line block ×4, first 2 shown]
	global_load_dwordx2 v[78:79], v[2:3], off offset:1904
	v_lshl_add_u64 v[4:5], v[4:5], 0, s[12:13]
	global_load_dwordx2 v[18:19], v[4:5], off
	global_load_dwordx2 v[76:77], v[2:3], off offset:2904
	v_lshl_add_u64 v[20:21], v[4:5], 0, s[12:13]
	global_load_dwordx2 v[22:23], v[20:21], off
	s_movk_i32 s14, 0x2000
	v_add_co_u32_e32 v4, vcc, s14, v24
	v_accvgpr_write_b32 a0, v24
	global_load_dwordx2 v[74:75], v[2:3], off offset:3904
	v_lshl_add_u64 v[20:21], v[20:21], 0, s[12:13]
	v_accvgpr_write_b32 a1, v25
	v_addc_co_u32_e32 v5, vcc, 0, v25, vcc
	global_load_dwordx2 v[24:25], v[20:21], off
	global_load_dwordx2 v[70:71], v[4:5], off offset:808
	global_load_dwordx2 v[68:69], v[4:5], off offset:1808
	v_lshl_add_u64 v[20:21], v[20:21], 0, s[12:13]
	global_load_dwordx2 v[26:27], v[20:21], off
	s_mul_hi_u32 s16, s8, 0xfffffb55
	s_mul_i32 s15, s9, 0xfffffb55
	s_sub_i32 s16, s16, s8
	v_lshl_add_u64 v[20:21], v[20:21], 0, s[12:13]
	s_mul_i32 s14, s8, 0xfffffb55
	global_load_dwordx2 v[28:29], v[20:21], off
	s_add_i32 s15, s16, s15
	v_lshl_add_u64 v[20:21], s[14:15], 3, v[20:21]
	global_load_dwordx2 v[30:31], v[20:21], off
	v_lshl_add_u64 v[20:21], v[20:21], 0, s[12:13]
	global_load_dwordx2 v[32:33], v[20:21], off
	;; [unrolled: 2-line block ×3, first 2 shown]
	s_load_dwordx2 s[10:11], s[0:1], 0x38
	v_cmp_gt_u16_e32 vcc, 15, v166
	s_waitcnt vmcnt(28)
	v_accvgpr_write_b32 a40, v54
	s_waitcnt vmcnt(27)
	v_mul_f32_e32 v36, v9, v55
	v_mul_f32_e32 v37, v8, v55
	v_fmac_f32_e32 v36, v8, v54
	v_fma_f32 v37, v9, v54, -v37
	s_waitcnt vmcnt(25)
	v_mul_f32_e32 v8, v11, v39
	v_mul_f32_e32 v9, v10, v39
	v_fmac_f32_e32 v8, v10, v38
	v_fma_f32 v9, v11, v38, -v9
	ds_write_b64 v178, v[8:9] offset:1000
	v_lshl_add_u64 v[8:9], v[20:21], 0, s[12:13]
	global_load_dwordx2 v[20:21], v[8:9], off
	v_accvgpr_write_b32 a34, v38
	v_lshl_add_u64 v[8:9], v[8:9], 0, s[12:13]
	v_accvgpr_write_b32 a35, v39
	global_load_dwordx2 v[38:39], v[8:9], off
	global_load_dwordx2 v[58:59], v[2:3], off offset:1344
	global_load_dwordx2 v[66:67], v[2:3], off offset:344
	s_waitcnt vmcnt(27)
	v_mul_f32_e32 v10, v13, v41
	v_mul_f32_e32 v11, v12, v41
	v_lshl_add_u64 v[8:9], v[8:9], 0, s[12:13]
	v_fmac_f32_e32 v10, v12, v40
	v_fma_f32 v11, v13, v40, -v11
	global_load_dwordx2 v[12:13], v[8:9], off
	v_accvgpr_write_b32 a32, v40
	ds_write_b64 v178, v[10:11] offset:2000
	v_lshl_add_u64 v[8:9], v[8:9], 0, s[12:13]
	v_accvgpr_write_b32 a33, v41
	s_waitcnt vmcnt(26)
	v_mul_f32_e32 v10, v15, v43
	global_load_dwordx2 v[40:41], v[8:9], off
	global_load_dwordx2 v[56:57], v[2:3], off offset:3344
	global_load_dwordx2 v[64:65], v[2:3], off offset:2344
	v_mul_f32_e32 v11, v14, v43
	v_fmac_f32_e32 v10, v14, v42
	v_fma_f32 v11, v15, v42, -v11
	v_lshl_add_u64 v[8:9], v[8:9], 0, s[12:13]
	ds_write_b64 v178, v[10:11] offset:3000
	global_load_dwordx2 v[10:11], v[8:9], off
	v_accvgpr_write_b32 a26, v42
	s_waitcnt vmcnt(28)
	v_mul_f32_e32 v14, v7, v45
	v_lshl_add_u64 v[8:9], v[8:9], 0, s[12:13]
	v_accvgpr_write_b32 a41, v55
	v_accvgpr_write_b32 a27, v43
	global_load_dwordx2 v[42:43], v[8:9], off
	global_load_dwordx2 v[54:55], v[4:5], off offset:1248
	global_load_dwordx2 v[62:63], v[4:5], off offset:248
	v_fmac_f32_e32 v14, v6, v44
	v_mul_f32_e32 v6, v6, v45
	v_fma_f32 v15, v7, v44, -v6
	v_lshl_add_u64 v[6:7], v[8:9], 0, s[12:13]
	global_load_dwordx2 v[8:9], v[6:7], off
	v_accvgpr_write_b32 a24, v44
	ds_write_b64 v178, v[14:15] offset:4000
	v_lshl_add_u64 v[6:7], v[6:7], 0, s[12:13]
	v_accvgpr_write_b32 a25, v45
	global_load_dwordx2 v[44:45], v[6:7], off
	global_load_dwordx2 v[60:61], v[4:5], off offset:2248
	s_waitcnt vmcnt(32)
	v_mul_f32_e32 v14, v17, v73
	v_mul_f32_e32 v15, v16, v73
	v_fmac_f32_e32 v14, v16, v72
	v_fma_f32 v15, v17, v72, -v15
	ds_write_b64 v178, v[14:15] offset:5000
	s_waitcnt vmcnt(26)
	v_mul_f32_e32 v14, v19, v79
	v_mul_f32_e32 v15, v18, v79
	v_fmac_f32_e32 v14, v18, v78
	v_fma_f32 v15, v19, v78, -v15
	ds_write_b64 v178, v[14:15] offset:6000
	s_waitcnt vmcnt(24)
	v_mul_f32_e32 v14, v23, v77
	v_mul_f32_e32 v15, v22, v77
	v_fmac_f32_e32 v14, v22, v76
	v_fma_f32 v15, v23, v76, -v15
	ds_write_b64 v178, v[14:15] offset:7000
	s_waitcnt vmcnt(22)
	v_mul_f32_e32 v14, v25, v75
	v_mul_f32_e32 v15, v24, v75
	v_fmac_f32_e32 v14, v24, v74
	v_fma_f32 v15, v25, v74, -v15
	ds_write_b64 v178, v[14:15] offset:8000
	s_waitcnt vmcnt(19)
	v_mul_f32_e32 v14, v27, v71
	v_mul_f32_e32 v15, v26, v71
	v_fmac_f32_e32 v14, v26, v70
	v_fma_f32 v15, v27, v70, -v15
	ds_write_b64 v178, v[14:15] offset:9000
	s_waitcnt vmcnt(18)
	v_mul_f32_e32 v14, v29, v69
	v_mul_f32_e32 v15, v28, v69
	v_fmac_f32_e32 v14, v28, v68
	v_fma_f32 v15, v29, v68, -v15
	ds_write_b64 v178, v[14:15] offset:10000
	s_waitcnt vmcnt(17)
	v_mul_f32_e32 v14, v31, v53
	v_mul_f32_e32 v15, v30, v53
	v_fmac_f32_e32 v14, v30, v52
	v_fma_f32 v15, v31, v52, -v15
	ds_write2_b64 v178, v[36:37], v[14:15] offset1:55
	s_waitcnt vmcnt(16)
	v_mul_f32_e32 v14, v33, v49
	v_mul_f32_e32 v15, v32, v49
	v_fmac_f32_e32 v14, v32, v48
	v_fma_f32 v15, v33, v48, -v15
	ds_write_b64 v178, v[14:15] offset:1440
	s_waitcnt vmcnt(15)
	v_mul_f32_e32 v14, v35, v51
	v_mul_f32_e32 v15, v34, v51
	v_fmac_f32_e32 v14, v34, v50
	v_fma_f32 v15, v35, v50, -v15
	ds_write_b64 v178, v[14:15] offset:2440
	s_waitcnt vmcnt(14)
	v_mul_f32_e32 v14, v21, v47
	v_mul_f32_e32 v15, v20, v47
	v_fmac_f32_e32 v14, v20, v46
	v_fma_f32 v15, v21, v46, -v15
	ds_write_b64 v178, v[14:15] offset:3440
	s_waitcnt vmcnt(11)
	v_mul_f32_e32 v14, v39, v67
	v_mul_f32_e32 v15, v38, v67
	v_fmac_f32_e32 v14, v38, v66
	v_fma_f32 v15, v39, v66, -v15
	ds_write_b64 v178, v[14:15] offset:4440
	s_waitcnt vmcnt(10)
	v_mul_f32_e32 v14, v13, v59
	v_fmac_f32_e32 v14, v12, v58
	v_mul_f32_e32 v12, v12, v59
	v_fma_f32 v15, v13, v58, -v12
	s_waitcnt vmcnt(7)
	v_mul_f32_e32 v12, v41, v65
	v_mul_f32_e32 v13, v40, v65
	v_fmac_f32_e32 v12, v40, v64
	v_fma_f32 v13, v41, v64, -v13
	ds_write_b64 v178, v[12:13] offset:6440
	s_waitcnt vmcnt(6)
	v_mul_f32_e32 v12, v11, v57
	v_fmac_f32_e32 v12, v10, v56
	v_mul_f32_e32 v10, v10, v57
	v_fma_f32 v13, v11, v56, -v10
	v_accvgpr_write_b32 a38, v72
	s_waitcnt vmcnt(3)
	v_mul_f32_e32 v10, v43, v63
	v_mul_f32_e32 v11, v42, v63
	v_fmac_f32_e32 v10, v42, v62
	v_fma_f32 v11, v43, v62, -v11
	ds_write_b64 v178, v[10:11] offset:8440
	s_waitcnt vmcnt(2)
	v_mul_f32_e32 v10, v9, v55
	v_fmac_f32_e32 v10, v8, v54
	v_mul_f32_e32 v8, v8, v55
	v_accvgpr_write_b32 a46, v78
	v_accvgpr_write_b32 a44, v76
	;; [unrolled: 1-line block ×15, first 2 shown]
	v_fma_f32 v11, v9, v54, -v8
	s_waitcnt vmcnt(0)
	v_mul_f32_e32 v8, v45, v61
	v_mul_f32_e32 v9, v44, v61
	v_accvgpr_write_b32 a16, v60
	v_accvgpr_write_b32 a39, v73
	;; [unrolled: 1-line block ×17, first 2 shown]
	v_fmac_f32_e32 v8, v44, v60
	v_accvgpr_write_b32 a17, v61
	v_fma_f32 v9, v45, v60, -v9
	ds_write_b64 v178, v[14:15] offset:5440
	ds_write_b64 v178, v[12:13] offset:7440
	;; [unrolled: 1-line block ×4, first 2 shown]
	s_and_saveexec_b64 s[16:17], vcc
	s_cbranch_execz .LBB0_3
; %bb.2:
	v_accvgpr_read_b32 v23, a1
	v_lshl_add_u64 v[6:7], s[14:15], 3, v[6:7]
	v_accvgpr_read_b32 v22, a0
	v_or_b32_e32 v34, 0x550, v166
	global_load_dwordx2 v[8:9], v[6:7], off
	v_lshl_add_u64 v[6:7], v[6:7], 0, s[12:13]
	global_load_dwordx2 v[12:13], v[22:23], off offset:880
	v_mad_u64_u32 v[28:29], s[14:15], s8, v34, 0
	global_load_dwordx2 v[10:11], v[6:7], off
	v_lshl_add_u64 v[6:7], v[6:7], 0, s[12:13]
	v_mov_b32_e32 v30, v29
	global_load_dwordx2 v[14:15], v[6:7], off
	v_lshl_add_u64 v[6:7], v[6:7], 0, s[12:13]
	v_mad_u64_u32 v[30:31], s[8:9], s9, v34, v[30:31]
	global_load_dwordx2 v[16:17], v[22:23], off offset:1880
	global_load_dwordx2 v[18:19], v[6:7], off
	global_load_dwordx2 v[20:21], v[22:23], off offset:2880
	s_nop 0
	global_load_dwordx2 v[22:23], v[22:23], off offset:3880
	v_lshl_add_u64 v[6:7], v[6:7], 0, s[12:13]
	v_mov_b32_e32 v29, v30
	global_load_dwordx2 v[24:25], v[6:7], off
	v_lshl_add_u64 v[6:7], v[6:7], 0, s[12:13]
	v_lshl_add_u64 v[0:1], v[28:29], 3, v[0:1]
	global_load_dwordx2 v[26:27], v[6:7], off
	global_load_dwordx2 v[32:33], v[2:3], off offset:784
	global_load_dwordx2 v[28:29], v[0:1], off
	global_load_dwordx2 v[30:31], v[2:3], off offset:1784
	v_lshlrev_b32_e32 v0, 3, v34
	v_lshl_add_u64 v[6:7], v[6:7], 0, s[12:13]
	global_load_dwordx2 v[0:1], v0, s[2:3]
	s_nop 0
	global_load_dwordx2 v[34:35], v[6:7], off
	global_load_dwordx2 v[36:37], v[2:3], off offset:2784
	global_load_dwordx2 v[38:39], v[2:3], off offset:3784
	v_lshl_add_u64 v[2:3], v[6:7], 0, s[12:13]
	global_load_dwordx2 v[6:7], v[2:3], off
	v_lshl_add_u64 v[2:3], v[2:3], 0, s[12:13]
	global_load_dwordx2 v[40:41], v[2:3], off
	global_load_dwordx2 v[42:43], v[4:5], off offset:688
	global_load_dwordx2 v[44:45], v[4:5], off offset:1688
	v_lshl_add_u64 v[2:3], v[2:3], 0, s[12:13]
	global_load_dwordx2 v[2:3], v[2:3], off
	v_add_u32_e32 v46, 0x800, v178
	v_add_u32_e32 v47, 0x1000, v178
	;; [unrolled: 1-line block ×4, first 2 shown]
	s_waitcnt vmcnt(20)
	v_mul_f32_e32 v4, v9, v13
	v_mul_f32_e32 v5, v8, v13
	v_fmac_f32_e32 v4, v8, v12
	v_fma_f32 v5, v9, v12, -v5
	s_waitcnt vmcnt(17)
	v_mul_f32_e32 v8, v11, v17
	v_mul_f32_e32 v9, v10, v17
	v_fmac_f32_e32 v8, v10, v16
	v_fma_f32 v9, v11, v16, -v9
	s_waitcnt vmcnt(15)
	v_mul_f32_e32 v10, v15, v21
	v_mul_f32_e32 v11, v14, v21
	ds_write2_b64 v178, v[4:5], v[8:9] offset0:110 offset1:235
	s_waitcnt vmcnt(14)
	v_mul_f32_e32 v4, v19, v23
	v_mul_f32_e32 v5, v18, v23
	v_fmac_f32_e32 v10, v14, v20
	v_fma_f32 v11, v15, v20, -v11
	v_fmac_f32_e32 v4, v18, v22
	v_fma_f32 v5, v19, v22, -v5
	s_waitcnt vmcnt(11)
	v_mul_f32_e32 v8, v25, v33
	v_mul_f32_e32 v9, v24, v33
	ds_write2_b64 v46, v[10:11], v[4:5] offset0:104 offset1:229
	s_waitcnt vmcnt(9)
	v_mul_f32_e32 v4, v27, v31
	v_mul_f32_e32 v5, v26, v31
	v_fmac_f32_e32 v8, v24, v32
	v_fma_f32 v9, v25, v32, -v9
	v_fmac_f32_e32 v4, v26, v30
	v_fma_f32 v5, v27, v30, -v5
	s_waitcnt vmcnt(6)
	v_mul_f32_e32 v12, v35, v37
	v_mul_f32_e32 v11, v34, v37
	ds_write2_b64 v47, v[8:9], v[4:5] offset0:98 offset1:223
	s_waitcnt vmcnt(4)
	v_mul_f32_e32 v4, v7, v39
	v_mul_f32_e32 v5, v6, v39
	v_fmac_f32_e32 v12, v34, v36
	v_fma_f32 v13, v35, v36, -v11
	v_fmac_f32_e32 v4, v6, v38
	v_fma_f32 v5, v7, v38, -v5
	v_mul_f32_e32 v10, v29, v1
	v_mul_f32_e32 v1, v28, v1
	s_waitcnt vmcnt(2)
	v_mul_f32_e32 v6, v41, v43
	v_mul_f32_e32 v7, v40, v43
	ds_write2_b64 v48, v[12:13], v[4:5] offset0:92 offset1:217
	s_waitcnt vmcnt(0)
	v_mul_f32_e32 v4, v3, v45
	v_mul_f32_e32 v5, v2, v45
	v_fmac_f32_e32 v10, v28, v0
	v_fmac_f32_e32 v6, v40, v42
	v_fma_f32 v7, v41, v42, -v7
	v_fmac_f32_e32 v4, v2, v44
	v_fma_f32 v5, v3, v44, -v5
	v_fma_f32 v11, v29, v0, -v1
	ds_write2_b64 v49, v[6:7], v[4:5] offset0:86 offset1:211
	ds_write_b64 v178, v[10:11] offset:10880
.LBB0_3:
	s_or_b64 exec, exec, s[16:17]
	v_add_u32_e32 v1, 0xc00, v178
	s_waitcnt lgkmcnt(0)
	; wave barrier
	s_waitcnt lgkmcnt(0)
	ds_read2_b64 v[16:19], v178 offset1:55
	ds_read2_b64 v[36:39], v178 offset0:125 offset1:180
	ds_read2_b64 v[48:51], v1 offset0:116 offset1:171
	v_add_u32_e32 v1, 0x1000, v178
	v_add_u32_e32 v2, 0x1c00, v178
	;; [unrolled: 1-line block ×3, first 2 shown]
	ds_read2_b64 v[64:67], v1 offset0:113 offset1:168
	v_add_u32_e32 v1, 0x1400, v178
	ds_read2_b64 v[60:63], v2 offset0:104 offset1:159
	v_add_u32_e32 v2, 0x2000, v178
	;; [unrolled: 2-line block ×5, first 2 shown]
	s_load_dwordx2 s[0:1], s[0:1], 0x8
	ds_read2_b64 v[44:47], v0 offset0:119 offset1:174
	ds_read2_b64 v[68:71], v1 offset0:107 offset1:162
	;; [unrolled: 1-line block ×3, first 2 shown]
	v_mov_b64_e32 v[12:13], 0
                                        ; implicit-def: $vgpr20
                                        ; implicit-def: $vgpr26
                                        ; implicit-def: $vgpr32
                                        ; implicit-def: $vgpr30
                                        ; implicit-def: $vgpr76
	s_and_saveexec_b64 s[8:9], vcc
	s_cbranch_execz .LBB0_5
; %bb.4:
	ds_read2_b64 v[12:15], v178 offset0:110 offset1:235
	ds_read2_b64 v[28:31], v0 offset0:104 offset1:229
	v_add_u32_e32 v0, 0x1000, v178
	ds_read2_b64 v[24:27], v0 offset0:98 offset1:223
	ds_read2_b64 v[20:23], v1 offset0:92 offset1:217
	v_add_u32_e32 v0, 0x2000, v178
	ds_read2_b64 v[32:35], v0 offset0:86 offset1:211
	ds_read_b64 v[76:77], v178 offset:10880
.LBB0_5:
	s_or_b64 exec, exec, s[8:9]
	s_waitcnt lgkmcnt(0)
	v_pk_add_f32 v[6:7], v[14:15], v[76:77] neg_lo:[0,1] neg_hi:[0,1]
	s_mov_b32 s12, 0xbf68dda4
	v_pk_add_f32 v[2:3], v[76:77], v[14:15]
	s_mov_b32 s38, 0x3ed4b147
	v_pk_mul_f32 v[80:81], v[6:7], s[12:13] op_sel:[1,0] op_sel_hi:[0,0]
	v_pk_fma_f32 v[78:79], v[2:3], s[38:39], v[80:81] op_sel_hi:[1,0,1]
	v_pk_fma_f32 v[80:81], v[2:3], s[38:39], v[80:81] op_sel_hi:[1,0,1] neg_lo:[0,0,1] neg_hi:[0,0,1]
	v_mov_b32_e32 v82, v78
	v_mov_b32_e32 v83, v81
	s_mov_b32 s14, 0xbf7d64f0
	v_pk_add_f32 v[86:87], v[82:83], v[12:13]
	s_mov_b32 s24, 0xbe11bafb
	v_pk_mul_f32 v[82:83], v[6:7], s[14:15] op_sel:[1,0] op_sel_hi:[0,0]
	v_pk_add_f32 v[4:5], v[28:29], v[34:35] neg_lo:[0,1] neg_hi:[0,1]
	v_pk_fma_f32 v[92:93], v[2:3], s[24:25], v[82:83] op_sel_hi:[1,0,1]
	v_pk_fma_f32 v[90:91], v[2:3], s[24:25], v[82:83] op_sel_hi:[1,0,1] neg_lo:[0,0,1] neg_hi:[0,0,1]
	s_mov_b32 s18, 0xbf4178ce
	v_pk_add_f32 v[0:1], v[34:35], v[28:29]
	v_mov_b32_e32 v82, v92
	v_mov_b32_e32 v83, v91
	s_mov_b32 s36, 0xbf27a4f4
	v_pk_mul_f32 v[84:85], v[4:5], s[18:19] op_sel:[1,0] op_sel_hi:[0,0]
	v_pk_add_f32 v[88:89], v[82:83], v[12:13]
	v_pk_fma_f32 v[82:83], v[0:1], s[36:37], v[84:85] op_sel_hi:[1,0,1]
	v_pk_fma_f32 v[84:85], v[0:1], s[36:37], v[84:85] op_sel_hi:[1,0,1] neg_lo:[0,0,1] neg_hi:[0,0,1]
	v_mov_b32_e32 v94, v82
	v_mov_b32_e32 v95, v85
	s_mov_b32 s20, 0x3e903f40
	s_mov_b32 s30, 0xbf75a155
	v_pk_add_f32 v[94:95], v[94:95], v[86:87]
	v_pk_mul_f32 v[86:87], v[4:5], s[20:21] op_sel:[1,0] op_sel_hi:[0,0]
	v_pk_fma_f32 v[100:101], v[0:1], s[30:31], v[86:87] op_sel_hi:[1,0,1]
	v_pk_fma_f32 v[96:97], v[0:1], s[30:31], v[86:87] op_sel_hi:[1,0,1] neg_lo:[0,0,1] neg_hi:[0,0,1]
	v_pk_add_f32 v[118:119], v[30:31], v[32:33] neg_lo:[0,1] neg_hi:[0,1]
	v_mov_b32_e32 v86, v100
	v_mov_b32_e32 v87, v97
	v_pk_add_f32 v[120:121], v[32:33], v[30:31]
	v_pk_add_f32 v[98:99], v[86:87], v[88:89]
	v_pk_mul_f32 v[88:89], v[118:119], s[20:21] op_sel:[1,0] op_sel_hi:[0,0]
	v_pk_fma_f32 v[86:87], v[120:121], s[30:31], v[88:89] op_sel_hi:[1,0,1]
	v_pk_fma_f32 v[88:89], v[120:121], s[30:31], v[88:89] op_sel_hi:[1,0,1] neg_lo:[0,0,1] neg_hi:[0,0,1]
	v_mov_b32_e32 v102, v86
	v_mov_b32_e32 v103, v89
	s_mov_b32 s26, 0x3f68dda4
	v_pk_add_f32 v[102:103], v[102:103], v[94:95]
	v_pk_mul_f32 v[94:95], v[118:119], s[26:27] op_sel:[1,0] op_sel_hi:[0,0]
	v_pk_fma_f32 v[106:107], v[120:121], s[38:39], v[94:95] op_sel_hi:[1,0,1] neg_lo:[0,0,1] neg_hi:[0,0,1]
	v_pk_fma_f32 v[94:95], v[120:121], s[38:39], v[94:95] op_sel_hi:[1,0,1]
	v_pk_add_f32 v[122:123], v[24:25], v[22:23] neg_lo:[0,1] neg_hi:[0,1]
	s_mov_b32 s22, 0x3f7d64f0
	v_mov_b32_e32 v109, v95
	v_mov_b32_e32 v95, v107
	v_pk_add_f32 v[10:11], v[22:23], v[24:25]
	v_pk_add_f32 v[104:105], v[94:95], v[98:99]
	v_pk_mul_f32 v[98:99], v[122:123], s[22:23] op_sel:[1,0] op_sel_hi:[0,0]
	v_pk_fma_f32 v[94:95], v[10:11], s[24:25], v[98:99] op_sel_hi:[1,0,1]
	v_pk_fma_f32 v[98:99], v[10:11], s[24:25], v[98:99] op_sel_hi:[1,0,1] neg_lo:[0,0,1] neg_hi:[0,0,1]
	s_mov_b32 s28, 0x3f575c64
	v_mov_b32_e32 v110, v94
	v_mov_b32_e32 v111, v99
	s_mov_b32 s8, 0xbf0a6770
	v_pk_add_f32 v[112:113], v[110:111], v[102:103]
	v_pk_mul_f32 v[102:103], v[10:11], s[28:29] op_sel_hi:[1,0]
	s_mov_b32 s16, 0x3f0a6770
	v_pk_fma_f32 v[110:111], v[122:123], s[8:9], v[102:103] op_sel:[1,0,0] op_sel_hi:[0,0,1] neg_lo:[1,0,0] neg_hi:[1,0,0]
	v_pk_fma_f32 v[102:103], v[122:123], s[8:9], v[102:103] op_sel:[1,0,0] op_sel_hi:[0,0,1]
	v_mov_b32_e32 v107, v103
	v_mov_b32_e32 v103, v111
	v_pk_add_f32 v[124:125], v[26:27], v[20:21] neg_lo:[0,1] neg_hi:[0,1]
	v_pk_add_f32 v[8:9], v[20:21], v[26:27]
	v_pk_add_f32 v[114:115], v[102:103], v[104:105]
	v_pk_mul_f32 v[104:105], v[124:125], s[16:17] op_sel:[1,0] op_sel_hi:[0,0]
	v_pk_fma_f32 v[102:103], v[8:9], s[28:29], v[104:105] op_sel_hi:[1,0,1]
	v_pk_fma_f32 v[104:105], v[8:9], s[28:29], v[104:105] op_sel_hi:[1,0,1] neg_lo:[0,0,1] neg_hi:[0,0,1]
	v_mov_b32_e32 v116, v102
	v_mov_b32_e32 v117, v105
	v_pk_add_f32 v[128:129], v[116:117], v[112:113]
	v_pk_mul_f32 v[116:117], v[8:9], s[36:37] op_sel_hi:[1,0]
	s_mov_b32 s34, 0xbe903f40
	v_pk_fma_f32 v[112:113], v[124:125], s[18:19], v[116:117] op_sel:[1,0,0] op_sel_hi:[0,0,1] neg_lo:[1,0,0] neg_hi:[1,0,0]
	v_pk_fma_f32 v[116:117], v[124:125], s[18:19], v[116:117] op_sel:[1,0,0] op_sel_hi:[0,0,1]
	v_mov_b32_e32 v111, v117
	v_mov_b32_e32 v117, v113
	v_pk_add_f32 v[126:127], v[116:117], v[114:115]
	v_pk_mul_f32 v[114:115], v[6:7], s[18:19] op_sel:[1,0] op_sel_hi:[0,0]
	v_accvgpr_write_b32 a48, v126
	v_accvgpr_write_b32 a49, v127
	;; [unrolled: 1-line block ×4, first 2 shown]
	v_pk_fma_f32 v[116:117], v[2:3], s[36:37], v[114:115] op_sel_hi:[1,0,1] neg_lo:[0,0,1] neg_hi:[0,0,1]
	v_pk_fma_f32 v[114:115], v[2:3], s[36:37], v[114:115] op_sel_hi:[1,0,1]
	v_pk_mul_f32 v[128:129], v[4:5], s[22:23] op_sel:[1,0] op_sel_hi:[0,0]
	v_mov_b32_e32 v126, v116
	v_mov_b32_e32 v127, v115
	v_pk_fma_f32 v[130:131], v[0:1], s[24:25], v[128:129] op_sel_hi:[1,0,1] neg_lo:[0,0,1] neg_hi:[0,0,1]
	v_pk_fma_f32 v[128:129], v[0:1], s[24:25], v[128:129] op_sel_hi:[1,0,1]
	v_pk_add_f32 v[126:127], v[126:127], v[12:13]
	v_mov_b32_e32 v132, v130
	v_mov_b32_e32 v133, v129
	v_pk_mul_f32 v[136:137], v[6:7], s[34:35] op_sel:[1,0] op_sel_hi:[0,0]
	v_pk_add_f32 v[126:127], v[132:133], v[126:127]
	v_pk_mul_f32 v[132:133], v[0:1], s[28:29] op_sel_hi:[1,0]
	v_pk_fma_f32 v[138:139], v[2:3], s[30:31], v[136:137] op_sel_hi:[1,0,1] neg_lo:[0,0,1] neg_hi:[0,0,1]
	v_pk_fma_f32 v[136:137], v[2:3], s[30:31], v[136:137] op_sel_hi:[1,0,1]
	v_pk_fma_f32 v[134:135], v[4:5], s[16:17], v[132:133] op_sel:[1,0,0] op_sel_hi:[0,0,1] neg_lo:[1,0,0] neg_hi:[1,0,0]
	v_pk_fma_f32 v[132:133], v[4:5], s[16:17], v[132:133] op_sel:[1,0,0] op_sel_hi:[0,0,1]
	v_mov_b32_e32 v140, v138
	v_mov_b32_e32 v141, v137
	v_pk_add_f32 v[140:141], v[140:141], v[12:13]
	v_mov_b32_e32 v143, v135
	v_mov_b32_e32 v135, v133
	v_pk_add_f32 v[134:135], v[134:135], v[140:141]
	v_pk_mul_f32 v[140:141], v[120:121], s[28:29] op_sel_hi:[1,0]
	v_mov_b32_e32 v137, v139
	v_pk_fma_f32 v[144:145], v[118:119], s[8:9], v[140:141] op_sel:[1,0,0] op_sel_hi:[0,0,1] neg_lo:[1,0,0] neg_hi:[1,0,0]
	v_pk_fma_f32 v[140:141], v[118:119], s[8:9], v[140:141] op_sel:[1,0,0] op_sel_hi:[0,0,1]
	v_mov_b32_e32 v146, v144
	v_mov_b32_e32 v147, v141
	v_pk_add_f32 v[126:127], v[146:147], v[126:127]
	v_pk_mul_f32 v[146:147], v[120:121], s[36:37] op_sel_hi:[1,0]
	v_mov_b32_e32 v115, v117
	v_pk_fma_f32 v[148:149], v[118:119], s[18:19], v[146:147] op_sel:[1,0,0] op_sel_hi:[0,0,1] neg_lo:[1,0,0] neg_hi:[1,0,0]
	v_pk_fma_f32 v[146:147], v[118:119], s[18:19], v[146:147] op_sel:[1,0,0] op_sel_hi:[0,0,1]
	;; [unrolled: 7-line block ×3, first 2 shown]
	v_mov_b32_e32 v154, v152
	v_mov_b32_e32 v155, v151
	v_pk_add_f32 v[126:127], v[154:155], v[126:127]
	v_pk_mul_f32 v[154:155], v[122:123], s[26:27] op_sel:[1,0] op_sel_hi:[0,0]
	v_pk_fma_f32 v[156:157], v[10:11], s[38:39], v[154:155] op_sel_hi:[1,0,1] neg_lo:[0,0,1] neg_hi:[0,0,1]
	v_pk_fma_f32 v[154:155], v[10:11], s[38:39], v[154:155] op_sel_hi:[1,0,1]
	v_mov_b32_e32 v158, v156
	v_mov_b32_e32 v159, v155
	v_pk_add_f32 v[134:135], v[158:159], v[134:135]
	v_pk_mul_f32 v[158:159], v[124:125], s[26:27] op_sel:[1,0] op_sel_hi:[0,0]
	v_pk_fma_f32 v[160:161], v[8:9], s[38:39], v[158:159] op_sel_hi:[1,0,1] neg_lo:[0,0,1] neg_hi:[0,0,1]
	v_pk_fma_f32 v[158:159], v[8:9], s[38:39], v[158:159] op_sel_hi:[1,0,1]
	v_mov_b32_e32 v162, v160
	v_mov_b32_e32 v163, v159
	;; [unrolled: 1-line block ×3, first 2 shown]
	v_pk_add_f32 v[114:115], v[114:115], v[12:13]
	v_pk_add_f32 v[116:117], v[136:137], v[12:13]
	;; [unrolled: 1-line block ×3, first 2 shown]
	v_pk_mul_f32 v[126:127], v[124:125], s[14:15] op_sel:[1,0] op_sel_hi:[0,0]
	v_pk_add_f32 v[114:115], v[128:129], v[114:115]
	v_pk_add_f32 v[116:117], v[142:143], v[116:117]
	v_mov_b32_e32 v141, v145
	v_mov_b32_e32 v147, v149
	v_pk_fma_f32 v[162:163], v[8:9], s[24:25], v[126:127] op_sel_hi:[1,0,1] neg_lo:[0,0,1] neg_hi:[0,0,1]
	v_pk_fma_f32 v[126:127], v[8:9], s[24:25], v[126:127] op_sel_hi:[1,0,1]
	v_pk_add_f32 v[114:115], v[140:141], v[114:115]
	v_pk_add_f32 v[116:117], v[146:147], v[116:117]
	v_mov_b32_e32 v151, v153
	v_mov_b32_e32 v155, v157
	;; [unrolled: 1-line block ×3, first 2 shown]
	v_pk_add_f32 v[114:115], v[150:151], v[114:115]
	v_pk_add_f32 v[116:117], v[154:155], v[116:117]
	v_mov_b32_e32 v159, v161
	v_mov_b32_e32 v127, v163
	v_pk_mul_f32 v[6:7], v[6:7], s[8:9] op_sel:[1,0] op_sel_hi:[0,0]
	v_pk_add_f32 v[128:129], v[158:159], v[114:115]
	v_pk_add_f32 v[126:127], v[126:127], v[116:117]
	v_pk_fma_f32 v[114:115], v[2:3], s[28:29], v[6:7] op_sel_hi:[1,0,1]
	v_pk_fma_f32 v[132:133], v[2:3], s[28:29], v[6:7] op_sel_hi:[1,0,1] neg_lo:[0,0,1] neg_hi:[0,0,1]
	v_pk_mul_f32 v[2:3], v[4:5], s[12:13] op_sel:[1,0] op_sel_hi:[0,0]
	v_accvgpr_write_b32 a56, v126
	v_pk_fma_f32 v[116:117], v[0:1], s[38:39], v[2:3] op_sel_hi:[1,0,1]
	v_pk_fma_f32 v[130:131], v[0:1], s[38:39], v[2:3] op_sel_hi:[1,0,1] neg_lo:[0,0,1] neg_hi:[0,0,1]
	v_pk_mul_f32 v[0:1], v[118:119], s[14:15] op_sel:[1,0] op_sel_hi:[0,0]
	v_accvgpr_write_b32 a57, v127
	v_accvgpr_write_b32 a58, v128
	;; [unrolled: 1-line block ×3, first 2 shown]
	v_pk_fma_f32 v[118:119], v[120:121], s[24:25], v[0:1] op_sel_hi:[1,0,1]
	v_pk_fma_f32 v[128:129], v[120:121], s[24:25], v[0:1] op_sel_hi:[1,0,1] neg_lo:[0,0,1] neg_hi:[0,0,1]
	v_pk_mul_f32 v[0:1], v[122:123], s[18:19] op_sel:[1,0] op_sel_hi:[0,0]
	v_pk_fma_f32 v[120:121], v[10:11], s[36:37], v[0:1] op_sel_hi:[1,0,1]
	v_pk_fma_f32 v[126:127], v[10:11], s[36:37], v[0:1] op_sel_hi:[1,0,1] neg_lo:[0,0,1] neg_hi:[0,0,1]
	v_pk_mul_f32 v[0:1], v[124:125], s[34:35] op_sel:[1,0] op_sel_hi:[0,0]
	v_pk_add_f32 v[152:153], v[52:53], v[36:37]
	v_pk_add_f32 v[2:3], v[36:37], v[52:53] neg_lo:[0,1] neg_hi:[0,1]
	v_pk_fma_f32 v[122:123], v[8:9], s[30:31], v[0:1] op_sel_hi:[1,0,1]
	v_pk_fma_f32 v[124:125], v[8:9], s[30:31], v[0:1] op_sel_hi:[1,0,1] neg_lo:[0,0,1] neg_hi:[0,0,1]
	v_mov_b32_e32 v1, v153
	v_mov_b32_e32 v153, v2
	s_mov_b32 s29, s8
	v_mov_b32_e32 v0, v3
	v_pk_add_f32 v[154:155], v[56:57], v[40:41]
	v_pk_add_f32 v[4:5], v[40:41], v[56:57] neg_lo:[0,1] neg_hi:[0,1]
	s_mov_b32 s9, s28
	v_pk_mul_f32 v[6:7], v[152:153], s[28:29]
	v_mov_b32_e32 v2, v5
	v_mov_b32_e32 v3, v155
	;; [unrolled: 1-line block ×3, first 2 shown]
	v_pk_fma_f32 v[8:9], v[0:1], s[8:9], v[6:7] neg_lo:[1,0,0] neg_hi:[1,0,0]
	v_pk_fma_f32 v[4:5], v[0:1], s[8:9], v[6:7]
	s_mov_b32 s39, s12
	v_mov_b32_e32 v164, v162
	v_mov_b32_e32 v9, v5
	s_mov_b32 s13, s38
	v_pk_mul_f32 v[10:11], v[154:155], s[38:39]
	v_pk_add_f32 v[170:171], v[164:165], v[134:135]
	v_pk_add_f32 v[134:135], v[16:17], v[8:9]
	v_pk_fma_f32 v[136:137], v[2:3], s[12:13], v[10:11] neg_lo:[1,0,0] neg_hi:[1,0,0]
	v_pk_fma_f32 v[8:9], v[2:3], s[12:13], v[10:11]
	v_pk_add_f32 v[156:157], v[60:61], v[44:45]
	v_mov_b32_e32 v137, v9
	v_pk_add_f32 v[140:141], v[136:137], v[134:135]
	v_pk_add_f32 v[136:137], v[44:45], v[60:61] neg_lo:[0,1] neg_hi:[0,1]
	v_mov_b32_e32 v135, v157
	v_mov_b32_e32 v157, v136
	s_mov_b32 s25, s14
	v_mov_b32_e32 v134, v137
	s_mov_b32 s15, s24
	v_pk_mul_f32 v[136:137], v[156:157], s[24:25]
	v_pk_add_f32 v[158:159], v[68:69], v[48:49]
	v_pk_fma_f32 v[142:143], v[134:135], s[14:15], v[136:137] neg_lo:[1,0,0] neg_hi:[1,0,0]
	v_pk_fma_f32 v[138:139], v[134:135], s[14:15], v[136:137]
	s_mov_b32 s37, s18
	v_mov_b32_e32 v143, v139
	v_pk_add_f32 v[146:147], v[142:143], v[140:141]
	v_pk_add_f32 v[142:143], v[48:49], v[68:69] neg_lo:[0,1] neg_hi:[0,1]
	v_mov_b32_e32 v141, v159
	v_mov_b32_e32 v159, v142
	v_pk_add_f32 v[36:37], v[16:17], v[36:37]
	v_mov_b32_e32 v140, v143
	s_mov_b32 s19, s36
	v_pk_mul_f32 v[142:143], v[158:159], s[36:37]
	v_pk_add_f32 v[36:37], v[36:37], v[40:41]
	v_pk_fma_f32 v[148:149], v[140:141], s[18:19], v[142:143] neg_lo:[1,0,0] neg_hi:[1,0,0]
	v_pk_fma_f32 v[144:145], v[140:141], s[18:19], v[142:143]
	v_pk_add_f32 v[36:37], v[36:37], v[44:45]
	v_mov_b32_e32 v149, v145
	v_pk_add_f32 v[36:37], v[36:37], v[48:49]
	v_pk_add_f32 v[160:161], v[148:149], v[146:147]
	;; [unrolled: 1-line block ×3, first 2 shown]
	v_pk_add_f32 v[148:149], v[64:65], v[72:73] neg_lo:[0,1] neg_hi:[0,1]
	v_pk_add_f32 v[36:37], v[36:37], v[64:65]
	v_mov_b32_e32 v147, v163
	v_mov_b32_e32 v163, v148
	s_mov_b32 s31, s34
	v_pk_add_f32 v[36:37], v[36:37], v[72:73]
	v_mov_b32_e32 v146, v149
	s_mov_b32 s35, s30
	v_pk_mul_f32 v[148:149], v[162:163], s[30:31]
	v_pk_add_f32 v[36:37], v[36:37], v[68:69]
	v_pk_fma_f32 v[164:165], v[146:147], s[34:35], v[148:149] neg_lo:[1,0,0] neg_hi:[1,0,0]
	v_pk_fma_f32 v[150:151], v[146:147], s[34:35], v[148:149]
	v_pk_add_f32 v[36:37], v[36:37], v[60:61]
	v_mov_b32_e32 v165, v151
	v_mul_lo_u16_e32 v5, 11, v166
	v_pk_add_f32 v[36:37], v[36:37], v[56:57]
	v_pk_add_f32 v[160:161], v[164:165], v[160:161]
	v_lshlrev_b32_e32 v206, 3, v5
	v_pk_add_f32 v[36:37], v[36:37], v[52:53]
	s_waitcnt lgkmcnt(0)
	; wave barrier
	ds_write2_b64 v206, v[36:37], v[160:161] offset1:1
	v_pk_mul_f32 v[36:37], v[152:153], s[38:39]
	v_pk_mul_f32 v[48:49], v[154:155], s[36:37]
	v_pk_fma_f32 v[40:41], v[0:1], s[12:13], v[36:37] neg_lo:[1,0,0] neg_hi:[1,0,0]
	v_pk_fma_f32 v[44:45], v[0:1], s[12:13], v[36:37]
	v_pk_fma_f32 v[52:53], v[2:3], s[18:19], v[48:49] neg_lo:[1,0,0] neg_hi:[1,0,0]
	v_mov_b32_e32 v41, v45
	v_pk_fma_f32 v[56:57], v[2:3], s[18:19], v[48:49]
	v_pk_add_f32 v[40:41], v[16:17], v[40:41]
	v_mov_b32_e32 v53, v57
	s_mov_b32 s46, s30
	s_mov_b32 s47, s20
	v_pk_add_f32 v[40:41], v[52:53], v[40:41]
	s_mov_b32 s21, s30
	v_pk_mul_f32 v[52:53], v[156:157], s[46:47]
	s_mov_b32 s44, s24
	v_pk_fma_f32 v[60:61], v[134:135], s[20:21], v[52:53] neg_lo:[1,0,0] neg_hi:[1,0,0]
	v_pk_fma_f32 v[64:65], v[134:135], s[20:21], v[52:53]
	s_mov_b32 s45, s22
	v_mov_b32_e32 v61, v65
	v_pk_add_f32 v[40:41], v[60:61], v[40:41]
	s_mov_b32 s23, s24
	v_pk_mul_f32 v[60:61], v[158:159], s[44:45]
	s_mov_b32 s40, s28
	v_pk_fma_f32 v[68:69], v[140:141], s[22:23], v[60:61] neg_lo:[1,0,0] neg_hi:[1,0,0]
	v_pk_fma_f32 v[72:73], v[140:141], s[22:23], v[60:61]
	s_mov_b32 s41, s16
	v_mov_b32_e32 v69, v73
	v_pk_add_f32 v[40:41], v[68:69], v[40:41]
	s_mov_b32 s17, s28
	v_pk_mul_f32 v[68:69], v[162:163], s[40:41]
	v_accvgpr_write_b32 a52, v168
	v_pk_fma_f32 v[160:161], v[146:147], s[16:17], v[68:69] neg_lo:[1,0,0] neg_hi:[1,0,0]
	v_pk_fma_f32 v[164:165], v[146:147], s[16:17], v[68:69]
	v_accvgpr_write_b32 a120, v167          ;  Reload Reuse
	v_mov_b32_e32 v161, v165
	v_pk_add_f32 v[40:41], v[160:161], v[40:41]
	v_pk_mul_f32 v[160:161], v[152:153], s[24:25]
	v_accvgpr_write_b32 a53, v169
	v_accvgpr_write_b32 a54, v170
	;; [unrolled: 1-line block ×3, first 2 shown]
	v_accvgpr_write_b32 a122, v166          ;  Reload Reuse
	v_pk_fma_f32 v[166:167], v[0:1], s[14:15], v[160:161] neg_lo:[1,0,0] neg_hi:[1,0,0]
	v_pk_fma_f32 v[168:169], v[0:1], s[14:15], v[160:161]
	v_pk_mul_f32 v[170:171], v[154:155], s[46:47]
	v_mov_b32_e32 v167, v169
	v_pk_fma_f32 v[172:173], v[2:3], s[20:21], v[170:171] neg_lo:[1,0,0] neg_hi:[1,0,0]
	v_pk_fma_f32 v[174:175], v[2:3], s[20:21], v[170:171]
	v_pk_add_f32 v[166:167], v[16:17], v[166:167]
	v_mov_b32_e32 v173, v175
	s_mov_b32 s42, s38
	s_mov_b32 s43, s26
	v_pk_add_f32 v[166:167], v[172:173], v[166:167]
	s_mov_b32 s27, s38
	v_pk_mul_f32 v[172:173], v[156:157], s[42:43]
	v_pk_mul_f32 v[190:191], v[154:155], s[44:45]
	v_pk_fma_f32 v[176:177], v[134:135], s[26:27], v[172:173] neg_lo:[1,0,0] neg_hi:[1,0,0]
	v_pk_fma_f32 v[180:181], v[134:135], s[26:27], v[172:173]
	v_pk_fma_f32 v[192:193], v[2:3], s[22:23], v[190:191] neg_lo:[1,0,0] neg_hi:[1,0,0]
	v_mov_b32_e32 v177, v181
	v_pk_add_f32 v[166:167], v[176:177], v[166:167]
	v_pk_mul_f32 v[176:177], v[158:159], s[28:29]
	v_pk_fma_f32 v[194:195], v[2:3], s[22:23], v[190:191]
	v_pk_fma_f32 v[182:183], v[140:141], s[8:9], v[176:177] neg_lo:[1,0,0] neg_hi:[1,0,0]
	v_pk_fma_f32 v[184:185], v[140:141], s[8:9], v[176:177]
	v_mov_b32_e32 v193, v195
	v_mov_b32_e32 v183, v185
	v_pk_add_f32 v[166:167], v[182:183], v[166:167]
	v_pk_mul_f32 v[182:183], v[162:163], s[36:37]
	v_pk_mul_f32 v[154:155], v[154:155], s[40:41]
	v_pk_fma_f32 v[186:187], v[146:147], s[18:19], v[182:183] neg_lo:[1,0,0] neg_hi:[1,0,0]
	v_pk_fma_f32 v[188:189], v[146:147], s[18:19], v[182:183]
	v_pk_fma_f32 v[214:215], v[2:3], s[16:17], v[154:155] neg_lo:[1,0,0] neg_hi:[1,0,0]
	v_mov_b32_e32 v187, v189
	v_pk_add_f32 v[166:167], v[186:187], v[166:167]
	ds_write2_b64 v206, v[40:41], v[166:167] offset0:2 offset1:3
	v_pk_mul_f32 v[40:41], v[152:153], s[36:37]
	v_pk_mul_f32 v[152:153], v[152:153], s[30:31]
	v_pk_fma_f32 v[166:167], v[0:1], s[18:19], v[40:41] neg_lo:[1,0,0] neg_hi:[1,0,0]
	v_pk_fma_f32 v[186:187], v[0:1], s[18:19], v[40:41]
	v_pk_fma_f32 v[212:213], v[0:1], s[34:35], v[152:153]
	v_mov_b32_e32 v167, v187
	v_pk_add_f32 v[166:167], v[16:17], v[166:167]
	v_pk_fma_f32 v[216:217], v[2:3], s[16:17], v[154:155]
	v_pk_add_f32 v[166:167], v[192:193], v[166:167]
	v_pk_mul_f32 v[192:193], v[156:157], s[28:29]
	v_mov_b32_e32 v215, v217
	v_pk_fma_f32 v[196:197], v[134:135], s[8:9], v[192:193] neg_lo:[1,0,0] neg_hi:[1,0,0]
	v_pk_fma_f32 v[198:199], v[134:135], s[8:9], v[192:193]
	v_pk_mul_f32 v[156:157], v[156:157], s[36:37]
	v_mov_b32_e32 v197, v199
	v_pk_add_f32 v[166:167], v[196:197], v[166:167]
	v_pk_mul_f32 v[196:197], v[158:159], s[30:31]
	v_pk_fma_f32 v[218:219], v[134:135], s[18:19], v[156:157]
	v_pk_fma_f32 v[200:201], v[140:141], s[34:35], v[196:197] neg_lo:[1,0,0] neg_hi:[1,0,0]
	v_pk_fma_f32 v[202:203], v[140:141], s[34:35], v[196:197]
	v_pk_mul_f32 v[158:159], v[158:159], s[42:43]
	v_mov_b32_e32 v201, v203
	v_pk_add_f32 v[166:167], v[200:201], v[166:167]
	v_pk_mul_f32 v[200:201], v[162:163], s[42:43]
	v_pk_fma_f32 v[220:221], v[140:141], s[26:27], v[158:159]
	v_pk_fma_f32 v[204:205], v[146:147], s[26:27], v[200:201] neg_lo:[1,0,0] neg_hi:[1,0,0]
	v_pk_fma_f32 v[210:211], v[146:147], s[26:27], v[200:201]
	v_pk_mul_f32 v[162:163], v[162:163], s[24:25]
	v_mov_b32_e32 v205, v211
	v_pk_add_f32 v[166:167], v[204:205], v[166:167]
	v_pk_fma_f32 v[204:205], v[0:1], s[34:35], v[152:153] neg_lo:[1,0,0] neg_hi:[1,0,0]
	v_pk_fma_f32 v[152:153], v[0:1], s[34:35], v[152:153] neg_lo:[0,0,1] neg_hi:[0,0,1]
	v_mov_b32_e32 v205, v213
	v_pk_add_f32 v[204:205], v[16:17], v[204:205]
	v_mov_b32_e32 v213, v153
	v_pk_add_f32 v[204:205], v[214:215], v[204:205]
	v_pk_fma_f32 v[214:215], v[134:135], s[18:19], v[156:157] neg_lo:[1,0,0] neg_hi:[1,0,0]
	v_pk_fma_f32 v[152:153], v[2:3], s[16:17], v[154:155] neg_lo:[0,0,1] neg_hi:[0,0,1]
	v_mov_b32_e32 v215, v219
	v_pk_add_f32 v[204:205], v[214:215], v[204:205]
	v_pk_fma_f32 v[214:215], v[140:141], s[26:27], v[158:159] neg_lo:[1,0,0] neg_hi:[1,0,0]
	v_pk_fma_f32 v[154:155], v[134:135], s[18:19], v[156:157] neg_lo:[0,0,1] neg_hi:[0,0,1]
	v_mov_b32_e32 v215, v221
	v_mov_b32_e32 v219, v155
	v_pk_fma_f32 v[154:155], v[140:141], s[26:27], v[158:159] neg_lo:[0,0,1] neg_hi:[0,0,1]
	v_pk_fma_f32 v[40:41], v[0:1], s[18:19], v[40:41] neg_lo:[0,0,1] neg_hi:[0,0,1]
	v_pk_add_f32 v[204:205], v[214:215], v[204:205]
	v_pk_fma_f32 v[214:215], v[146:147], s[14:15], v[162:163] neg_lo:[1,0,0] neg_hi:[1,0,0]
	v_pk_fma_f32 v[222:223], v[146:147], s[14:15], v[162:163]
	v_mov_b32_e32 v221, v155
	v_pk_fma_f32 v[154:155], v[146:147], s[14:15], v[162:163] neg_lo:[0,0,1] neg_hi:[0,0,1]
	v_mov_b32_e32 v187, v41
	v_pk_fma_f32 v[40:41], v[2:3], s[22:23], v[190:191] neg_lo:[0,0,1] neg_hi:[0,0,1]
	v_mov_b32_e32 v215, v223
	v_mov_b32_e32 v217, v153
	v_pk_add_f32 v[152:153], v[16:17], v[212:213]
	v_mov_b32_e32 v223, v155
	v_mov_b32_e32 v195, v41
	v_pk_add_f32 v[40:41], v[16:17], v[186:187]
	v_pk_fma_f32 v[154:155], v[134:135], s[8:9], v[192:193] neg_lo:[0,0,1] neg_hi:[0,0,1]
	v_pk_add_f32 v[152:153], v[216:217], v[152:153]
	v_pk_add_f32 v[40:41], v[194:195], v[40:41]
	v_mov_b32_e32 v199, v155
	v_pk_fma_f32 v[154:155], v[140:141], s[34:35], v[196:197] neg_lo:[0,0,1] neg_hi:[0,0,1]
	v_pk_add_f32 v[152:153], v[218:219], v[152:153]
	v_pk_add_f32 v[40:41], v[198:199], v[40:41]
	v_mov_b32_e32 v203, v155
	;; [unrolled: 4-line block ×3, first 2 shown]
	v_pk_add_f32 v[152:153], v[222:223], v[152:153]
	v_pk_add_f32 v[40:41], v[210:211], v[40:41]
	ds_write2_b64 v206, v[152:153], v[40:41] offset0:6 offset1:7
	v_pk_fma_f32 v[40:41], v[0:1], s[14:15], v[160:161] neg_lo:[0,0,1] neg_hi:[0,0,1]
	v_pk_fma_f32 v[36:37], v[0:1], s[12:13], v[36:37] neg_lo:[0,0,1] neg_hi:[0,0,1]
	v_mov_b32_e32 v169, v41
	v_pk_fma_f32 v[40:41], v[2:3], s[20:21], v[170:171] neg_lo:[0,0,1] neg_hi:[0,0,1]
	v_mov_b32_e32 v45, v37
	;; [unrolled: 2-line block ×3, first 2 shown]
	v_pk_add_f32 v[40:41], v[16:17], v[168:169]
	v_pk_fma_f32 v[152:153], v[134:135], s[26:27], v[172:173] neg_lo:[0,0,1] neg_hi:[0,0,1]
	v_mov_b32_e32 v57, v37
	v_pk_add_f32 v[36:37], v[16:17], v[44:45]
	v_pk_fma_f32 v[44:45], v[134:135], s[20:21], v[52:53] neg_lo:[0,0,1] neg_hi:[0,0,1]
	v_pk_add_f32 v[40:41], v[174:175], v[40:41]
	v_mov_b32_e32 v181, v153
	v_pk_fma_f32 v[152:153], v[140:141], s[8:9], v[176:177] neg_lo:[0,0,1] neg_hi:[0,0,1]
	v_pk_add_f32 v[36:37], v[56:57], v[36:37]
	v_mov_b32_e32 v65, v45
	v_pk_fma_f32 v[44:45], v[140:141], s[22:23], v[60:61] neg_lo:[0,0,1] neg_hi:[0,0,1]
	v_pk_add_f32 v[40:41], v[180:181], v[40:41]
	v_mov_b32_e32 v185, v153
	v_pk_fma_f32 v[152:153], v[146:147], s[18:19], v[182:183] neg_lo:[0,0,1] neg_hi:[0,0,1]
	v_pk_add_f32 v[36:37], v[64:65], v[36:37]
	v_mov_b32_e32 v73, v45
	v_pk_fma_f32 v[44:45], v[146:147], s[16:17], v[68:69] neg_lo:[0,0,1] neg_hi:[0,0,1]
	v_pk_add_f32 v[40:41], v[184:185], v[40:41]
	v_mov_b32_e32 v189, v153
	v_pk_add_f32 v[36:37], v[72:73], v[36:37]
	v_mov_b32_e32 v165, v45
	v_pk_add_f32 v[40:41], v[188:189], v[40:41]
	v_pk_add_f32 v[36:37], v[164:165], v[36:37]
	ds_write2_b64 v206, v[40:41], v[36:37] offset0:8 offset1:9
	v_pk_add_f32 v[36:37], v[18:19], v[38:39]
	v_pk_fma_f32 v[0:1], v[0:1], s[8:9], v[6:7] neg_lo:[0,0,1] neg_hi:[0,0,1]
	v_pk_add_f32 v[36:37], v[36:37], v[42:43]
	v_mov_b32_e32 v5, v1
	v_pk_add_f32 v[36:37], v[36:37], v[46:47]
	v_pk_fma_f32 v[0:1], v[2:3], s[12:13], v[10:11] neg_lo:[0,0,1] neg_hi:[0,0,1]
	v_pk_add_f32 v[36:37], v[36:37], v[50:51]
	v_mov_b32_e32 v9, v1
	v_pk_add_f32 v[36:37], v[36:37], v[66:67]
	v_pk_add_f32 v[0:1], v[16:17], v[4:5]
	v_pk_fma_f32 v[2:3], v[134:135], s[14:15], v[136:137] neg_lo:[0,0,1] neg_hi:[0,0,1]
	v_pk_add_f32 v[36:37], v[36:37], v[74:75]
	v_pk_add_f32 v[0:1], v[8:9], v[0:1]
	v_mov_b32_e32 v139, v3
	v_pk_fma_f32 v[2:3], v[140:141], s[18:19], v[142:143] neg_lo:[0,0,1] neg_hi:[0,0,1]
	v_pk_add_f32 v[36:37], v[36:37], v[70:71]
	v_pk_add_f32 v[0:1], v[138:139], v[0:1]
	v_mov_b32_e32 v145, v3
	;; [unrolled: 4-line block ×3, first 2 shown]
	v_pk_add_f32 v[60:61], v[62:63], v[46:47]
	v_pk_add_f32 v[40:41], v[46:47], v[62:63] neg_lo:[0,1] neg_hi:[0,1]
	v_pk_add_f32 v[62:63], v[58:59], v[42:43]
	v_pk_add_f32 v[42:43], v[42:43], v[58:59] neg_lo:[0,1] neg_hi:[0,1]
	v_pk_add_f32 v[36:37], v[36:37], v[58:59]
	v_pk_add_f32 v[58:59], v[54:55], v[38:39]
	v_pk_add_f32 v[38:39], v[38:39], v[54:55] neg_lo:[0,1] neg_hi:[0,1]
	v_pk_add_f32 v[0:1], v[150:151], v[0:1]
	ds_write_b64 v206, v[0:1] offset:80
	v_mov_b32_e32 v1, v59
	v_mov_b32_e32 v59, v38
	;; [unrolled: 1-line block ×3, first 2 shown]
	v_pk_mul_f32 v[6:7], v[58:59], s[28:29]
	v_mov_b32_e32 v3, v63
	v_mov_b32_e32 v63, v42
	v_pk_fma_f32 v[8:9], v[0:1], s[8:9], v[6:7] neg_lo:[1,0,0] neg_hi:[1,0,0]
	v_pk_fma_f32 v[4:5], v[0:1], s[8:9], v[6:7]
	v_mov_b32_e32 v2, v43
	v_mov_b32_e32 v9, v5
	v_pk_mul_f32 v[10:11], v[62:63], s[38:39]
	v_pk_add_f32 v[54:55], v[36:37], v[54:55]
	v_pk_add_f32 v[16:17], v[18:19], v[8:9]
	v_pk_fma_f32 v[36:37], v[2:3], s[12:13], v[10:11] neg_lo:[1,0,0] neg_hi:[1,0,0]
	v_pk_fma_f32 v[8:9], v[2:3], s[12:13], v[10:11]
	v_pk_add_f32 v[56:57], v[70:71], v[50:51]
	v_mov_b32_e32 v37, v9
	v_pk_add_f32 v[42:43], v[36:37], v[16:17]
	v_mov_b32_e32 v17, v61
	v_mov_b32_e32 v61, v40
	v_mov_b32_e32 v16, v41
	v_pk_mul_f32 v[38:39], v[60:61], s[24:25]
	v_pk_add_f32 v[44:45], v[50:51], v[70:71] neg_lo:[0,1] neg_hi:[0,1]
	v_pk_fma_f32 v[40:41], v[16:17], s[14:15], v[38:39] neg_lo:[1,0,0] neg_hi:[1,0,0]
	v_pk_fma_f32 v[36:37], v[16:17], s[14:15], v[38:39]
	v_pk_add_f32 v[52:53], v[74:75], v[66:67]
	v_mov_b32_e32 v41, v37
	v_pk_add_f32 v[46:47], v[40:41], v[42:43]
	v_mov_b32_e32 v41, v57
	v_mov_b32_e32 v57, v44
	;; [unrolled: 1-line block ×3, first 2 shown]
	v_pk_mul_f32 v[44:45], v[56:57], s[36:37]
	v_pk_add_f32 v[48:49], v[66:67], v[74:75] neg_lo:[0,1] neg_hi:[0,1]
	v_pk_fma_f32 v[50:51], v[40:41], s[18:19], v[44:45] neg_lo:[1,0,0] neg_hi:[1,0,0]
	v_pk_fma_f32 v[42:43], v[40:41], s[18:19], v[44:45]
	v_pk_add_f32 v[204:205], v[214:215], v[204:205]
	v_mov_b32_e32 v51, v43
	v_pk_add_f32 v[64:65], v[50:51], v[46:47]
	v_mov_b32_e32 v47, v53
	v_mov_b32_e32 v53, v48
	;; [unrolled: 1-line block ×3, first 2 shown]
	v_pk_mul_f32 v[50:51], v[52:53], s[30:31]
	ds_write2_b64 v206, v[166:167], v[204:205] offset0:4 offset1:5
	v_pk_fma_f32 v[66:67], v[46:47], s[34:35], v[50:51] neg_lo:[1,0,0] neg_hi:[1,0,0]
	v_pk_fma_f32 v[48:49], v[46:47], s[34:35], v[50:51]
	v_pk_mul_f32 v[70:71], v[62:63], s[36:37]
	v_mov_b32_e32 v67, v49
	v_pk_add_f32 v[64:65], v[66:67], v[64:65]
	v_accvgpr_read_b32 v67, a120            ;  Reload Reuse
	v_accvgpr_read_b32 v66, a122            ;  Reload Reuse
	v_lshl_add_u64 v[68:69], v[66:67], 0, 55
	v_mul_u32_u24_e32 v5, 11, v68
	v_lshlrev_b32_e32 v179, 3, v5
	ds_write2_b64 v179, v[54:55], v[64:65] offset1:1
	v_pk_mul_f32 v[54:55], v[58:59], s[38:39]
	v_pk_fma_f32 v[72:73], v[2:3], s[18:19], v[70:71] neg_lo:[1,0,0] neg_hi:[1,0,0]
	v_pk_fma_f32 v[64:65], v[0:1], s[12:13], v[54:55] neg_lo:[1,0,0] neg_hi:[1,0,0]
	v_pk_fma_f32 v[66:67], v[0:1], s[12:13], v[54:55]
	v_pk_fma_f32 v[74:75], v[2:3], s[18:19], v[70:71]
	v_mov_b32_e32 v65, v67
	v_pk_add_f32 v[64:65], v[18:19], v[64:65]
	v_mov_b32_e32 v73, v75
	v_pk_add_f32 v[64:65], v[72:73], v[64:65]
	v_pk_mul_f32 v[72:73], v[60:61], s[46:47]
	v_pk_mul_f32 v[150:151], v[62:63], s[46:47]
	v_pk_fma_f32 v[134:135], v[16:17], s[20:21], v[72:73] neg_lo:[1,0,0] neg_hi:[1,0,0]
	v_pk_fma_f32 v[136:137], v[16:17], s[20:21], v[72:73]
	v_pk_fma_f32 v[152:153], v[2:3], s[20:21], v[150:151] neg_lo:[1,0,0] neg_hi:[1,0,0]
	v_mov_b32_e32 v135, v137
	v_pk_add_f32 v[64:65], v[134:135], v[64:65]
	v_pk_mul_f32 v[134:135], v[56:57], s[44:45]
	v_pk_fma_f32 v[154:155], v[2:3], s[20:21], v[150:151]
	v_pk_fma_f32 v[138:139], v[40:41], s[22:23], v[134:135] neg_lo:[1,0,0] neg_hi:[1,0,0]
	v_pk_fma_f32 v[140:141], v[40:41], s[22:23], v[134:135]
	v_mov_b32_e32 v153, v155
	v_mov_b32_e32 v139, v141
	v_pk_add_f32 v[64:65], v[138:139], v[64:65]
	v_pk_mul_f32 v[138:139], v[52:53], s[40:41]
	v_pk_mul_f32 v[168:169], v[62:63], s[44:45]
	v_pk_fma_f32 v[142:143], v[46:47], s[16:17], v[138:139] neg_lo:[1,0,0] neg_hi:[1,0,0]
	v_pk_fma_f32 v[144:145], v[46:47], s[16:17], v[138:139]
	v_pk_fma_f32 v[170:171], v[2:3], s[22:23], v[168:169] neg_lo:[1,0,0] neg_hi:[1,0,0]
	v_mov_b32_e32 v143, v145
	v_pk_add_f32 v[64:65], v[142:143], v[64:65]
	v_pk_mul_f32 v[142:143], v[58:59], s[24:25]
	v_pk_fma_f32 v[172:173], v[2:3], s[22:23], v[168:169]
	v_pk_fma_f32 v[146:147], v[0:1], s[14:15], v[142:143] neg_lo:[1,0,0] neg_hi:[1,0,0]
	v_pk_fma_f32 v[148:149], v[0:1], s[14:15], v[142:143]
	v_mov_b32_e32 v171, v173
	v_mov_b32_e32 v147, v149
	v_pk_add_f32 v[146:147], v[18:19], v[146:147]
	v_pk_mul_f32 v[62:63], v[62:63], s[40:41]
	v_pk_add_f32 v[146:147], v[152:153], v[146:147]
	v_pk_mul_f32 v[152:153], v[60:61], s[42:43]
	v_pk_fma_f32 v[190:191], v[2:3], s[16:17], v[62:63] neg_lo:[1,0,0] neg_hi:[1,0,0]
	v_pk_fma_f32 v[156:157], v[16:17], s[26:27], v[152:153] neg_lo:[1,0,0] neg_hi:[1,0,0]
	v_pk_fma_f32 v[158:159], v[16:17], s[26:27], v[152:153]
	v_pk_fma_f32 v[192:193], v[2:3], s[16:17], v[62:63]
	v_mov_b32_e32 v157, v159
	v_pk_add_f32 v[146:147], v[156:157], v[146:147]
	v_pk_mul_f32 v[156:157], v[56:57], s[28:29]
	v_mov_b32_e32 v191, v193
	v_pk_fma_f32 v[160:161], v[40:41], s[8:9], v[156:157] neg_lo:[1,0,0] neg_hi:[1,0,0]
	v_pk_fma_f32 v[162:163], v[40:41], s[8:9], v[156:157]
	v_pk_fma_f32 v[54:55], v[0:1], s[12:13], v[54:55] neg_lo:[0,0,1] neg_hi:[0,0,1]
	v_mov_b32_e32 v161, v163
	v_pk_add_f32 v[146:147], v[160:161], v[146:147]
	v_pk_mul_f32 v[160:161], v[52:53], s[36:37]
	v_mov_b32_e32 v67, v55
	v_pk_fma_f32 v[164:165], v[46:47], s[18:19], v[160:161] neg_lo:[1,0,0] neg_hi:[1,0,0]
	v_pk_fma_f32 v[166:167], v[46:47], s[18:19], v[160:161]
	v_pk_fma_f32 v[54:55], v[2:3], s[18:19], v[70:71] neg_lo:[0,0,1] neg_hi:[0,0,1]
	v_mov_b32_e32 v165, v167
	v_pk_add_f32 v[146:147], v[164:165], v[146:147]
	ds_write2_b64 v179, v[64:65], v[146:147] offset0:2 offset1:3
	v_pk_mul_f32 v[64:65], v[58:59], s[36:37]
	v_pk_mul_f32 v[58:59], v[58:59], s[30:31]
	v_pk_fma_f32 v[146:147], v[0:1], s[18:19], v[64:65] neg_lo:[1,0,0] neg_hi:[1,0,0]
	v_pk_fma_f32 v[164:165], v[0:1], s[18:19], v[64:65]
	v_pk_fma_f32 v[188:189], v[0:1], s[34:35], v[58:59]
	v_mov_b32_e32 v147, v165
	v_pk_add_f32 v[146:147], v[18:19], v[146:147]
	v_mov_b32_e32 v75, v55
	v_pk_add_f32 v[146:147], v[170:171], v[146:147]
	v_pk_mul_f32 v[170:171], v[60:61], s[28:29]
	v_pk_mul_f32 v[60:61], v[60:61], s[36:37]
	v_pk_fma_f32 v[174:175], v[16:17], s[8:9], v[170:171] neg_lo:[1,0,0] neg_hi:[1,0,0]
	v_pk_fma_f32 v[176:177], v[16:17], s[8:9], v[170:171]
	v_pk_fma_f32 v[194:195], v[16:17], s[18:19], v[60:61]
	v_mov_b32_e32 v175, v177
	v_pk_add_f32 v[146:147], v[174:175], v[146:147]
	v_pk_mul_f32 v[174:175], v[56:57], s[30:31]
	v_pk_mul_f32 v[56:57], v[56:57], s[42:43]
	v_pk_fma_f32 v[180:181], v[40:41], s[34:35], v[174:175] neg_lo:[1,0,0] neg_hi:[1,0,0]
	v_pk_fma_f32 v[182:183], v[40:41], s[34:35], v[174:175]
	v_pk_fma_f32 v[196:197], v[40:41], s[26:27], v[56:57]
	;; [unrolled: 7-line block ×3, first 2 shown]
	v_mov_b32_e32 v185, v187
	v_pk_add_f32 v[146:147], v[184:185], v[146:147]
	v_pk_fma_f32 v[184:185], v[0:1], s[34:35], v[58:59] neg_lo:[1,0,0] neg_hi:[1,0,0]
	v_pk_fma_f32 v[58:59], v[0:1], s[34:35], v[58:59] neg_lo:[0,0,1] neg_hi:[0,0,1]
	v_mov_b32_e32 v185, v189
	v_pk_add_f32 v[184:185], v[18:19], v[184:185]
	v_mov_b32_e32 v189, v59
	v_pk_add_f32 v[184:185], v[190:191], v[184:185]
	v_pk_fma_f32 v[190:191], v[16:17], s[18:19], v[60:61] neg_lo:[1,0,0] neg_hi:[1,0,0]
	v_pk_fma_f32 v[58:59], v[2:3], s[16:17], v[62:63] neg_lo:[0,0,1] neg_hi:[0,0,1]
	v_mov_b32_e32 v191, v195
	v_pk_add_f32 v[184:185], v[190:191], v[184:185]
	v_pk_fma_f32 v[190:191], v[40:41], s[26:27], v[56:57] neg_lo:[1,0,0] neg_hi:[1,0,0]
	v_mov_b32_e32 v193, v59
	v_pk_add_f32 v[58:59], v[18:19], v[188:189]
	v_pk_fma_f32 v[60:61], v[16:17], s[18:19], v[60:61] neg_lo:[0,0,1] neg_hi:[0,0,1]
	v_mov_b32_e32 v191, v197
	v_pk_add_f32 v[58:59], v[192:193], v[58:59]
	v_mov_b32_e32 v195, v61
	v_pk_fma_f32 v[56:57], v[40:41], s[26:27], v[56:57] neg_lo:[0,0,1] neg_hi:[0,0,1]
	v_pk_add_f32 v[184:185], v[190:191], v[184:185]
	v_pk_fma_f32 v[190:191], v[46:47], s[14:15], v[52:53] neg_lo:[1,0,0] neg_hi:[1,0,0]
	v_pk_add_f32 v[58:59], v[194:195], v[58:59]
	v_mov_b32_e32 v197, v57
	v_pk_fma_f32 v[52:53], v[46:47], s[14:15], v[52:53] neg_lo:[0,0,1] neg_hi:[0,0,1]
	v_mov_b32_e32 v191, v199
	v_pk_add_f32 v[56:57], v[196:197], v[58:59]
	v_mov_b32_e32 v199, v53
	v_pk_add_f32 v[52:53], v[198:199], v[56:57]
	v_pk_fma_f32 v[56:57], v[0:1], s[18:19], v[64:65] neg_lo:[0,0,1] neg_hi:[0,0,1]
	v_pk_fma_f32 v[58:59], v[16:17], s[8:9], v[170:171] neg_lo:[0,0,1] neg_hi:[0,0,1]
	v_mov_b32_e32 v165, v57
	v_pk_fma_f32 v[56:57], v[2:3], s[22:23], v[168:169] neg_lo:[0,0,1] neg_hi:[0,0,1]
	v_mov_b32_e32 v177, v59
	v_mov_b32_e32 v173, v57
	v_pk_add_f32 v[56:57], v[18:19], v[164:165]
	v_pk_fma_f32 v[58:59], v[40:41], s[34:35], v[174:175] neg_lo:[0,0,1] neg_hi:[0,0,1]
	v_pk_add_f32 v[56:57], v[172:173], v[56:57]
	v_mov_b32_e32 v183, v59
	v_pk_add_f32 v[56:57], v[176:177], v[56:57]
	v_pk_fma_f32 v[58:59], v[46:47], s[26:27], v[180:181] neg_lo:[0,0,1] neg_hi:[0,0,1]
	v_pk_add_f32 v[56:57], v[182:183], v[56:57]
	v_mov_b32_e32 v187, v59
	v_pk_add_f32 v[56:57], v[186:187], v[56:57]
	ds_write2_b64 v179, v[52:53], v[56:57] offset0:6 offset1:7
	v_pk_fma_f32 v[56:57], v[16:17], s[26:27], v[152:153] neg_lo:[0,0,1] neg_hi:[0,0,1]
	v_pk_fma_f32 v[52:53], v[0:1], s[14:15], v[142:143] neg_lo:[0,0,1] neg_hi:[0,0,1]
	v_mov_b32_e32 v159, v57
	v_pk_fma_f32 v[56:57], v[40:41], s[8:9], v[156:157] neg_lo:[0,0,1] neg_hi:[0,0,1]
	v_mov_b32_e32 v149, v53
	v_pk_fma_f32 v[52:53], v[2:3], s[20:21], v[150:151] neg_lo:[0,0,1] neg_hi:[0,0,1]
	v_mov_b32_e32 v163, v57
	v_pk_fma_f32 v[56:57], v[46:47], s[18:19], v[160:161] neg_lo:[0,0,1] neg_hi:[0,0,1]
	v_mov_b32_e32 v155, v53
	v_pk_add_f32 v[52:53], v[18:19], v[148:149]
	v_mov_b32_e32 v167, v57
	v_pk_add_f32 v[54:55], v[18:19], v[66:67]
	v_pk_fma_f32 v[56:57], v[16:17], s[20:21], v[72:73] neg_lo:[0,0,1] neg_hi:[0,0,1]
	v_pk_add_f32 v[52:53], v[154:155], v[52:53]
	v_pk_add_f32 v[54:55], v[74:75], v[54:55]
	v_mov_b32_e32 v137, v57
	v_pk_fma_f32 v[56:57], v[40:41], s[22:23], v[134:135] neg_lo:[0,0,1] neg_hi:[0,0,1]
	v_pk_add_f32 v[52:53], v[158:159], v[52:53]
	v_pk_add_f32 v[54:55], v[136:137], v[54:55]
	v_mov_b32_e32 v141, v57
	;; [unrolled: 4-line block ×3, first 2 shown]
	v_pk_add_f32 v[52:53], v[166:167], v[52:53]
	v_pk_add_f32 v[54:55], v[144:145], v[54:55]
	v_pk_fma_f32 v[0:1], v[0:1], s[8:9], v[6:7] neg_lo:[0,0,1] neg_hi:[0,0,1]
	ds_write2_b64 v179, v[52:53], v[54:55] offset0:8 offset1:9
	v_mov_b32_e32 v52, v114
	v_mov_b32_e32 v53, v133
	;; [unrolled: 1-line block ×3, first 2 shown]
	v_pk_fma_f32 v[2:3], v[2:3], s[12:13], v[10:11] neg_lo:[0,0,1] neg_hi:[0,0,1]
	v_pk_add_f32 v[52:53], v[52:53], v[12:13]
	v_mov_b32_e32 v54, v116
	v_mov_b32_e32 v55, v131
	v_pk_add_f32 v[0:1], v[18:19], v[4:5]
	v_mov_b32_e32 v9, v3
	v_pk_fma_f32 v[2:3], v[16:17], s[14:15], v[38:39] neg_lo:[0,0,1] neg_hi:[0,0,1]
	v_pk_add_f32 v[52:53], v[54:55], v[52:53]
	v_mov_b32_e32 v54, v118
	v_mov_b32_e32 v55, v129
	;; [unrolled: 1-line block ×3, first 2 shown]
	v_pk_add_f32 v[0:1], v[8:9], v[0:1]
	v_mov_b32_e32 v37, v3
	v_pk_fma_f32 v[2:3], v[40:41], s[18:19], v[44:45] neg_lo:[0,0,1] neg_hi:[0,0,1]
	v_accvgpr_read_b32 v167, a120           ;  Reload Reuse
	v_pk_add_f32 v[52:53], v[54:55], v[52:53]
	v_mov_b32_e32 v97, v101
	v_pk_add_f32 v[54:55], v[90:91], v[12:13]
	v_mov_b32_e32 v56, v120
	v_mov_b32_e32 v57, v127
	v_pk_add_f32 v[0:1], v[36:37], v[0:1]
	v_mov_b32_e32 v43, v3
	v_pk_fma_f32 v[2:3], v[46:47], s[34:35], v[50:51] neg_lo:[0,0,1] neg_hi:[0,0,1]
	v_accvgpr_read_b32 v166, a122           ;  Reload Reuse
	v_pk_add_f32 v[54:55], v[96:97], v[54:55]
	v_mov_b32_e32 v108, v106
	v_pk_add_f32 v[52:53], v[56:57], v[52:53]
	s_mov_b64 s[16:17], 0x6e
	v_mov_b32_e32 v56, v122
	v_mov_b32_e32 v57, v125
	v_pk_add_f32 v[0:1], v[42:43], v[0:1]
	v_mov_b32_e32 v49, v3
	v_pk_add_f32 v[54:55], v[108:109], v[54:55]
	;; [unrolled: 2-line block ×3, first 2 shown]
	v_lshl_add_u64 v[96:97], v[166:167], 0, s[16:17]
	v_pk_add_f32 v[0:1], v[48:49], v[0:1]
	v_pk_add_f32 v[54:55], v[106:107], v[54:55]
	v_accvgpr_write_b32 a83, v53
	v_mov_b32_e32 v110, v112
	ds_write_b64 v179, v[0:1] offset:80
	v_mul_u32_u24_e32 v0, 11, v96
	v_pk_add_f32 v[184:185], v[190:191], v[184:185]
	v_accvgpr_write_b32 a82, v52
	v_pk_add_f32 v[70:71], v[110:111], v[54:55]
	v_accvgpr_write_b32 a84, v0
	ds_write2_b64 v179, v[146:147], v[184:185] offset0:4 offset1:5
	s_and_saveexec_b64 s[8:9], vcc
	s_cbranch_execz .LBB0_7
; %bb.6:
	v_accvgpr_read_b32 v0, a84
	v_lshlrev_b32_e32 v4, 3, v0
	v_pk_add_f32 v[0:1], v[14:15], v[12:13]
	v_mov_b32_e32 v133, v115
	v_pk_add_f32 v[0:1], v[28:29], v[0:1]
	v_pk_add_f32 v[2:3], v[132:133], v[12:13]
	v_pk_add_f32 v[0:1], v[30:31], v[0:1]
	v_mov_b32_e32 v131, v117
	v_pk_add_f32 v[0:1], v[24:25], v[0:1]
	v_pk_add_f32 v[2:3], v[130:131], v[2:3]
	;; [unrolled: 4-line block ×5, first 2 shown]
	v_mov_b32_e32 v81, v79
	ds_write2_b64 v4, v[0:1], v[2:3] offset1:1
	v_pk_add_f32 v[0:1], v[80:81], v[12:13]
	v_mov_b32_e32 v85, v83
	v_pk_add_f32 v[0:1], v[84:85], v[0:1]
	v_mov_b32_e32 v89, v87
	;; [unrolled: 2-line block ×4, first 2 shown]
	v_pk_add_f32 v[0:1], v[104:105], v[0:1]
	ds_write2_b64 v4, v[0:1], v[70:71] offset0:2 offset1:3
	v_accvgpr_read_b32 v0, a52
	v_accvgpr_read_b32 v1, a53
	v_accvgpr_read_b32 v2, a54
	v_accvgpr_read_b32 v3, a55
	ds_write2_b64 v4, v[0:1], v[2:3] offset0:4 offset1:5
	v_accvgpr_read_b32 v0, a56
	v_accvgpr_read_b32 v1, a57
	v_accvgpr_read_b32 v2, a58
	v_accvgpr_read_b32 v3, a59
	;; [unrolled: 5-line block ×3, first 2 shown]
	ds_write2_b64 v4, v[0:1], v[2:3] offset0:8 offset1:9
	ds_write_b64 v4, a[82:83] offset:80
.LBB0_7:
	s_or_b64 exec, exec, s[8:9]
	s_mov_b64 s[12:13], 0xa5
	v_lshl_add_u64 v[102:103], v[166:167], 0, s[12:13]
	s_mov_b64 s[12:13], 0xdc
	v_lshl_add_u64 v[100:101], v[166:167], 0, s[12:13]
	s_movk_i32 s12, 0x75
	v_mul_lo_u16_sdwa v0, v166, s12 dst_sel:DWORD dst_unused:UNUSED_PAD src0_sel:BYTE_0 src1_sel:DWORD
	v_sub_u16_sdwa v1, v166, v0 dst_sel:DWORD dst_unused:UNUSED_PAD src0_sel:DWORD src1_sel:BYTE_1
	v_lshrrev_b16_e32 v1, 1, v1
	v_and_b32_e32 v1, 0x7f, v1
	v_add_u16_sdwa v0, v1, v0 dst_sel:DWORD dst_unused:UNUSED_PAD src0_sel:DWORD src1_sel:BYTE_1
	v_lshrrev_b16_e32 v0, 3, v0
	v_mul_lo_u16_e32 v1, 11, v0
	v_sub_u16_e32 v1, v166, v1
	v_and_b32_e32 v1, 0xff, v1
	v_lshlrev_b32_e32 v2, 5, v1
	s_waitcnt lgkmcnt(0)
	; wave barrier
	s_waitcnt lgkmcnt(0)
	global_load_dwordx4 v[24:27], v2, s[0:1] offset:16
	global_load_dwordx4 v[20:23], v2, s[0:1]
	v_mul_lo_u16_sdwa v2, v68, s12 dst_sel:DWORD dst_unused:UNUSED_PAD src0_sel:BYTE_0 src1_sel:DWORD
	v_sub_u16_sdwa v3, v68, v2 dst_sel:DWORD dst_unused:UNUSED_PAD src0_sel:DWORD src1_sel:BYTE_1
	v_lshrrev_b16_e32 v3, 1, v3
	v_and_b32_e32 v3, 0x7f, v3
	v_add_u16_sdwa v2, v3, v2 dst_sel:DWORD dst_unused:UNUSED_PAD src0_sel:DWORD src1_sel:BYTE_1
	v_lshrrev_b16_e32 v2, 3, v2
	v_mul_lo_u16_e32 v3, 11, v2
	v_sub_u16_e32 v3, v68, v3
	v_and_b32_e32 v3, 0xff, v3
	v_lshlrev_b32_e32 v4, 5, v3
	global_load_dwordx4 v[28:31], v4, s[0:1] offset:16
	global_load_dwordx4 v[16:19], v4, s[0:1]
	v_mul_lo_u16_sdwa v4, v96, s12 dst_sel:DWORD dst_unused:UNUSED_PAD src0_sel:BYTE_0 src1_sel:DWORD
	v_sub_u16_sdwa v5, v96, v4 dst_sel:DWORD dst_unused:UNUSED_PAD src0_sel:DWORD src1_sel:BYTE_1
	v_lshrrev_b16_e32 v5, 1, v5
	v_and_b32_e32 v5, 0x7f, v5
	v_add_u16_sdwa v4, v5, v4 dst_sel:DWORD dst_unused:UNUSED_PAD src0_sel:DWORD src1_sel:BYTE_1
	v_lshrrev_b16_e32 v4, 3, v4
	v_mul_lo_u16_e32 v5, 11, v4
	v_sub_u16_e32 v5, v96, v5
	v_and_b32_e32 v5, 0xff, v5
	v_lshlrev_b32_e32 v6, 5, v5
	;; [unrolled: 12-line block ×3, first 2 shown]
	s_mov_b32 s12, 0xba2f
	global_load_dwordx4 v[36:39], v8, s[0:1] offset:16
	global_load_dwordx4 v[40:43], v8, s[0:1]
	v_mul_u32_u24_sdwa v8, v100, s12 dst_sel:DWORD dst_unused:UNUSED_PAD src0_sel:WORD_0 src1_sel:DWORD
	v_lshrrev_b32_e32 v8, 19, v8
	v_mul_lo_u16_e32 v9, 11, v8
	v_sub_u16_e32 v9, v100, v9
	v_lshlrev_b16_e32 v10, 2, v9
	v_lshlrev_b32_e32 v10, 3, v10
	global_load_dwordx4 v[44:47], v10, s[0:1] offset:16
	global_load_dwordx4 v[48:51], v10, s[0:1]
	v_add_u32_e32 v168, 0x800, v178
	ds_read2_b64 v[72:75], v168 offset0:184 offset1:239
	v_mul_u32_u24_e32 v0, 55, v0
	v_add_lshl_u32 v69, v0, v1, 3
	v_mul_u32_u24_e32 v0, 55, v2
	v_add_u32_e32 v169, 0x1800, v178
	v_add_lshl_u32 v15, v0, v3, 3
	v_mul_u32_u24_e32 v0, 55, v4
	ds_read2_b64 v[56:59], v169 offset0:2 offset1:57
	v_add_lshl_u32 v14, v0, v5, 3
	v_mul_u32_u24_e32 v0, 55, v6
	v_add_u32_e32 v160, 0x400, v178
	v_add_u32_e32 v170, 0x1c00, v178
	v_add_lshl_u32 v13, v0, v7, 3
	v_mad_legacy_u16 v0, v8, 55, v9
	ds_read2_b64 v[52:55], v160 offset0:92 offset1:147
	ds_read2_b64 v[64:67], v170 offset0:94 offset1:149
	ds_read_b64 v[8:9], v178 offset:10560
	v_lshlrev_b32_e32 v12, 3, v0
	v_add_u32_e32 v171, 0x1000, v178
	ds_read2_b64 v[82:85], v171 offset0:148 offset1:203
	v_add_u32_e32 v172, 0x2000, v178
	s_mov_b32 s14, 0x3f737871
	ds_read2_b64 v[86:89], v172 offset0:186 offset1:241
	s_mov_b32 s16, 0x3f167918
	s_mov_b32 s12, 0x3e9e377a
	v_accvgpr_write_b32 a75, v69
	v_accvgpr_write_b32 a29, v12
	;; [unrolled: 1-line block ×4, first 2 shown]
	v_mov_b32_e32 v157, 0
	v_accvgpr_write_b32 a74, v15
	s_add_u32 s8, s2, 0x2af8
	s_addc_u32 s9, s3, 0
	s_waitcnt vmcnt(4)
	v_accvgpr_write_b32 a62, v104
	v_accvgpr_write_b32 a63, v105
	;; [unrolled: 1-line block ×4, first 2 shown]
	s_waitcnt vmcnt(2) lgkmcnt(6)
	v_pk_mul_f32 v[80:81], v[72:73], v[40:41] op_sel:[0,1]
	s_nop 0
	v_pk_fma_f32 v[78:79], v[72:73], v[40:41], v[80:81] op_sel:[0,0,1] op_sel_hi:[1,1,0] neg_lo:[0,0,1] neg_hi:[0,0,1]
	v_pk_fma_f32 v[72:73], v[72:73], v[40:41], v[80:81] op_sel:[0,0,1] op_sel_hi:[1,0,0]
	s_waitcnt vmcnt(1) lgkmcnt(3)
	v_pk_mul_f32 v[6:7], v[66:67], v[44:45] op_sel:[0,1]
	s_waitcnt vmcnt(0)
	v_pk_mul_f32 v[2:3], v[74:75], v[48:49] op_sel:[0,1]
	v_mov_b32_e32 v72, v43
	v_pk_fma_f32 v[0:1], v[74:75], v[48:49], v[2:3] op_sel:[0,0,1] op_sel_hi:[1,1,0] neg_lo:[0,0,1] neg_hi:[0,0,1]
	v_pk_fma_f32 v[2:3], v[74:75], v[48:49], v[2:3] op_sel:[0,0,1] op_sel_hi:[1,0,0]
	s_waitcnt lgkmcnt(1)
	v_pk_mul_f32 v[80:81], v[84:85], v[72:73] op_sel_hi:[1,0]
	v_mov_b32_e32 v2, v51
	v_pk_mul_f32 v[4:5], v[56:57], v[2:3] op_sel_hi:[1,0]
	v_mov_b32_e32 v1, v3
	v_pk_fma_f32 v[2:3], v[56:57], v[50:51], v[4:5] op_sel:[0,0,1] op_sel_hi:[1,1,0] neg_lo:[0,0,1] neg_hi:[0,0,1]
	v_pk_fma_f32 v[4:5], v[56:57], v[50:51], v[4:5] op_sel:[0,0,1] op_sel_hi:[1,0,0]
	v_mov_b32_e32 v79, v73
	v_mov_b32_e32 v3, v5
	v_pk_fma_f32 v[4:5], v[66:67], v[44:45], v[6:7] op_sel:[0,0,1] op_sel_hi:[1,1,0] neg_lo:[0,0,1] neg_hi:[0,0,1]
	v_pk_fma_f32 v[6:7], v[66:67], v[44:45], v[6:7] op_sel:[0,0,1] op_sel_hi:[1,0,0]
	v_pk_add_f32 v[60:61], v[0:1], v[2:3] neg_lo:[0,1] neg_hi:[0,1]
	v_mov_b32_e32 v6, v47
	v_pk_mul_f32 v[10:11], v[8:9], v[6:7] op_sel_hi:[1,0]
	v_mov_b32_e32 v5, v7
	v_pk_fma_f32 v[6:7], v[8:9], v[46:47], v[10:11] op_sel:[0,0,1] op_sel_hi:[1,1,0] neg_lo:[0,0,1] neg_hi:[0,0,1]
	v_pk_fma_f32 v[8:9], v[8:9], v[46:47], v[10:11] op_sel:[0,0,1] op_sel_hi:[1,0,0]
	v_pk_add_f32 v[10:11], v[2:3], v[4:5] neg_lo:[0,1] neg_hi:[0,1]
	v_mov_b32_e32 v7, v9
	v_pk_add_f32 v[8:9], v[2:3], v[4:5]
	v_pk_add_f32 v[62:63], v[6:7], v[4:5] neg_lo:[0,1] neg_hi:[0,1]
	v_pk_fma_f32 v[56:57], v[8:9], 0.5, v[52:53] op_sel_hi:[1,0,1] neg_lo:[1,0,0] neg_hi:[1,0,0]
	v_pk_add_f32 v[8:9], v[0:1], v[6:7] neg_lo:[0,1] neg_hi:[0,1]
	v_pk_add_f32 v[66:67], v[60:61], v[62:63]
	v_pk_fma_f32 v[60:61], v[8:9], s[14:15], v[56:57] op_sel:[1,0,0] op_sel_hi:[0,0,1] neg_lo:[1,0,0] neg_hi:[1,0,0]
	v_pk_fma_f32 v[76:77], v[10:11], s[16:17], v[60:61] op_sel:[1,0,0] op_sel_hi:[0,0,1] neg_lo:[1,0,0] neg_hi:[1,0,0]
	ds_read2_b64 v[60:63], v178 offset0:110 offset1:165
	v_pk_fma_f32 v[72:73], v[84:85], v[42:43], v[80:81] op_sel:[0,0,1] op_sel_hi:[1,1,0] neg_lo:[0,0,1] neg_hi:[0,0,1]
	v_pk_fma_f32 v[80:81], v[84:85], v[42:43], v[80:81] op_sel:[0,0,1] op_sel_hi:[1,0,0]
	v_pk_mul_f32 v[84:85], v[64:65], v[36:37] op_sel:[0,1]
	v_mov_b32_e32 v73, v81
	v_pk_fma_f32 v[80:81], v[64:65], v[36:37], v[84:85] op_sel:[0,0,1] op_sel_hi:[1,1,0] neg_lo:[0,0,1] neg_hi:[0,0,1]
	v_pk_fma_f32 v[64:65], v[64:65], v[36:37], v[84:85] op_sel:[0,0,1] op_sel_hi:[1,0,0]
	v_pk_fma_f32 v[56:57], v[8:9], s[14:15], v[56:57] op_sel:[1,0,0] op_sel_hi:[0,0,1]
	v_mov_b32_e32 v64, v39
	s_waitcnt lgkmcnt(1)
	v_pk_mul_f32 v[84:85], v[88:89], v[64:65] op_sel_hi:[1,0]
	v_mov_b32_e32 v81, v65
	v_pk_fma_f32 v[64:65], v[88:89], v[38:39], v[84:85] op_sel:[0,0,1] op_sel_hi:[1,1,0] neg_lo:[0,0,1] neg_hi:[0,0,1]
	v_pk_fma_f32 v[84:85], v[88:89], v[38:39], v[84:85] op_sel:[0,0,1] op_sel_hi:[1,0,0]
	ds_read2_b64 v[88:91], v168 offset0:74 offset1:129
	ds_read2_b64 v[92:95], v169 offset0:112 offset1:167
	v_mov_b32_e32 v65, v85
	s_waitcnt lgkmcnt(2)
	v_pk_add_f32 v[84:85], v[62:63], v[78:79]
	v_pk_fma_f32 v[74:75], v[10:11], s[16:17], v[56:57] op_sel:[1,0,0] op_sel_hi:[0,0,1]
	v_pk_add_f32 v[84:85], v[84:85], v[72:73]
	v_mov_b32_e32 v56, v76
	v_pk_add_f32 v[84:85], v[84:85], v[80:81]
	v_mov_b32_e32 v76, v107
	v_pk_add_f32 v[98:99], v[84:85], v[64:65]
	s_waitcnt lgkmcnt(1)
	v_pk_mul_f32 v[84:85], v[90:91], v[104:105] op_sel:[0,1]
	v_pk_mul_f32 v[116:117], v[88:89], v[16:17] op_sel:[0,1]
	v_pk_fma_f32 v[112:113], v[90:91], v[104:105], v[84:85] op_sel:[0,0,1] op_sel_hi:[1,1,0] neg_lo:[0,0,1] neg_hi:[0,0,1]
	v_pk_fma_f32 v[84:85], v[90:91], v[104:105], v[84:85] op_sel:[0,0,1] op_sel_hi:[1,0,0]
	v_pk_fma_f32 v[118:119], v[88:89], v[16:17], v[116:117] op_sel:[0,0,1] op_sel_hi:[1,1,0] neg_lo:[0,0,1] neg_hi:[0,0,1]
	v_mov_b32_e32 v113, v85
	v_pk_mul_f32 v[84:85], v[82:83], v[76:77] op_sel_hi:[1,0]
	v_mov_b32_e32 v76, v35
	v_pk_fma_f32 v[90:91], v[82:83], v[106:107], v[84:85] op_sel:[0,0,1] op_sel_hi:[1,1,0] neg_lo:[0,0,1] neg_hi:[0,0,1]
	v_pk_fma_f32 v[82:83], v[82:83], v[106:107], v[84:85] op_sel:[0,0,1] op_sel_hi:[1,0,0]
	v_pk_fma_f32 v[88:89], v[88:89], v[16:17], v[116:117] op_sel:[0,0,1] op_sel_hi:[1,0,0]
	v_mov_b32_e32 v91, v83
	s_waitcnt lgkmcnt(0)
	v_pk_mul_f32 v[82:83], v[94:95], v[32:33] op_sel:[0,1]
	v_mov_b32_e32 v119, v89
	v_pk_fma_f32 v[114:115], v[94:95], v[32:33], v[82:83] op_sel:[0,0,1] op_sel_hi:[1,1,0] neg_lo:[0,0,1] neg_hi:[0,0,1]
	v_pk_fma_f32 v[82:83], v[94:95], v[32:33], v[82:83] op_sel:[0,0,1] op_sel_hi:[1,0,0]
	s_movk_i32 s15, 0x1000
	v_mov_b32_e32 v115, v83
	v_pk_mul_f32 v[82:83], v[86:87], v[76:77] op_sel_hi:[1,0]
	v_mov_b32_e32 v76, v19
	v_pk_fma_f32 v[94:95], v[86:87], v[34:35], v[82:83] op_sel:[0,0,1] op_sel_hi:[1,1,0] neg_lo:[0,0,1] neg_hi:[0,0,1]
	v_pk_fma_f32 v[82:83], v[86:87], v[34:35], v[82:83] op_sel:[0,0,1] op_sel_hi:[1,0,0]
	v_mov_b32_e32 v57, v75
	v_mov_b32_e32 v95, v83
	v_pk_add_f32 v[82:83], v[60:61], v[112:113]
	v_pk_fma_f32 v[56:57], v[66:67], s[12:13], v[56:57] op_sel_hi:[1,0,1]
	v_pk_add_f32 v[82:83], v[82:83], v[90:91]
	s_movk_i32 s13, 0x2000
	v_pk_add_f32 v[82:83], v[82:83], v[114:115]
	v_mov_b32_e32 v75, v77
	v_pk_add_f32 v[86:87], v[82:83], v[94:95]
	ds_read2_b64 v[82:85], v178 offset1:55
	ds_read2_b64 v[104:107], v171 offset0:38 offset1:93
	ds_read2_b64 v[108:111], v172 offset0:76 offset1:131
	s_waitcnt lgkmcnt(0)
	; wave barrier
	s_waitcnt lgkmcnt(0)
	v_pk_mul_f32 v[88:89], v[106:107], v[76:77] op_sel_hi:[1,0]
	s_nop 0
	v_pk_fma_f32 v[116:117], v[106:107], v[18:19], v[88:89] op_sel:[0,0,1] op_sel_hi:[1,1,0] neg_lo:[0,0,1] neg_hi:[0,0,1]
	v_pk_fma_f32 v[88:89], v[106:107], v[18:19], v[88:89] op_sel:[0,0,1] op_sel_hi:[1,0,0]
	v_mov_b32_e32 v76, v31
	v_mov_b32_e32 v117, v89
	v_pk_mul_f32 v[88:89], v[92:93], v[28:29] op_sel:[0,1]
	s_nop 0
	v_pk_fma_f32 v[106:107], v[92:93], v[28:29], v[88:89] op_sel:[0,0,1] op_sel_hi:[1,1,0] neg_lo:[0,0,1] neg_hi:[0,0,1]
	v_pk_fma_f32 v[88:89], v[92:93], v[28:29], v[88:89] op_sel:[0,0,1] op_sel_hi:[1,0,0]
	s_nop 0
	v_mov_b32_e32 v107, v89
	v_pk_mul_f32 v[88:89], v[110:111], v[76:77] op_sel_hi:[1,0]
	s_nop 0
	v_pk_fma_f32 v[92:93], v[110:111], v[30:31], v[88:89] op_sel:[0,0,1] op_sel_hi:[1,1,0] neg_lo:[0,0,1] neg_hi:[0,0,1]
	v_pk_fma_f32 v[88:89], v[110:111], v[30:31], v[88:89] op_sel:[0,0,1] op_sel_hi:[1,0,0]
	v_pk_mul_f32 v[110:111], v[54:55], v[20:21] op_sel:[0,1]
	v_mov_b32_e32 v93, v89
	v_pk_fma_f32 v[120:121], v[54:55], v[20:21], v[110:111] op_sel:[0,0,1] op_sel_hi:[1,1,0] neg_lo:[0,0,1] neg_hi:[0,0,1]
	v_pk_fma_f32 v[54:55], v[54:55], v[20:21], v[110:111] op_sel:[0,0,1] op_sel_hi:[1,0,0]
	v_pk_add_f32 v[88:89], v[84:85], v[118:119]
	v_mov_b32_e32 v54, v23
	v_mov_b32_e32 v121, v55
	v_pk_mul_f32 v[54:55], v[104:105], v[54:55] op_sel_hi:[1,0]
	v_pk_add_f32 v[88:89], v[88:89], v[116:117]
	v_pk_fma_f32 v[110:111], v[104:105], v[22:23], v[54:55] op_sel:[0,0,1] op_sel_hi:[1,1,0] neg_lo:[0,0,1] neg_hi:[0,0,1]
	v_pk_fma_f32 v[54:55], v[104:105], v[22:23], v[54:55] op_sel:[0,0,1] op_sel_hi:[1,0,0]
	v_pk_add_f32 v[88:89], v[88:89], v[106:107]
	v_mov_b32_e32 v111, v55
	v_pk_mul_f32 v[54:55], v[58:59], v[24:25] op_sel:[0,1]
	v_pk_add_f32 v[130:131], v[120:121], v[110:111] neg_lo:[0,1] neg_hi:[0,1]
	v_pk_fma_f32 v[104:105], v[58:59], v[24:25], v[54:55] op_sel:[0,0,1] op_sel_hi:[1,1,0] neg_lo:[0,0,1] neg_hi:[0,0,1]
	v_pk_fma_f32 v[54:55], v[58:59], v[24:25], v[54:55] op_sel:[0,0,1] op_sel_hi:[1,0,0]
	v_pk_add_f32 v[88:89], v[88:89], v[92:93]
	v_mov_b32_e32 v54, v27
	v_mov_b32_e32 v105, v55
	v_pk_mul_f32 v[54:55], v[108:109], v[54:55] op_sel_hi:[1,0]
	v_pk_add_f32 v[126:127], v[110:111], v[104:105] neg_lo:[0,1] neg_hi:[0,1]
	v_pk_fma_f32 v[58:59], v[108:109], v[26:27], v[54:55] op_sel:[0,0,1] op_sel_hi:[1,1,0] neg_lo:[0,0,1] neg_hi:[0,0,1]
	v_pk_fma_f32 v[54:55], v[108:109], v[26:27], v[54:55] op_sel:[0,0,1] op_sel_hi:[1,0,0]
	v_pk_add_f32 v[108:109], v[110:111], v[104:105]
	v_mov_b32_e32 v59, v55
	v_pk_add_f32 v[122:123], v[120:121], v[58:59] neg_lo:[0,1] neg_hi:[0,1]
	v_pk_fma_f32 v[108:109], v[108:109], 0.5, v[82:83] op_sel_hi:[1,0,1] neg_lo:[1,0,0] neg_hi:[1,0,0]
	v_pk_mul_f32 v[124:125], v[122:123], s[14:15] op_sel_hi:[1,0]
	v_pk_add_f32 v[132:133], v[58:59], v[104:105] neg_lo:[0,1] neg_hi:[0,1]
	v_pk_add_f32 v[54:55], v[82:83], v[120:121]
	v_pk_mul_f32 v[128:129], v[126:127], s[16:17] op_sel_hi:[1,0]
	v_pk_add_f32 v[130:131], v[130:131], v[132:133]
	v_pk_add_f32 v[132:133], v[108:109], v[124:125] op_sel:[0,1] op_sel_hi:[1,0]
	v_pk_add_f32 v[108:109], v[108:109], v[124:125] op_sel:[0,1] op_sel_hi:[1,0] neg_lo:[0,1] neg_hi:[0,1]
	v_pk_add_f32 v[54:55], v[54:55], v[110:111]
	v_pk_add_f32 v[108:109], v[108:109], v[128:129] op_sel:[0,1] op_sel_hi:[1,0] neg_lo:[0,1] neg_hi:[0,1]
	v_pk_add_f32 v[124:125], v[132:133], v[128:129] op_sel:[0,1] op_sel_hi:[1,0]
	v_pk_add_f32 v[54:55], v[54:55], v[104:105]
	v_mov_b32_e32 v128, v124
	v_mov_b32_e32 v129, v109
	v_pk_add_f32 v[54:55], v[54:55], v[58:59]
	v_pk_fma_f32 v[128:129], v[130:131], s[12:13], v[128:129] op_sel_hi:[1,0,1]
	ds_write2_b64 v69, v[54:55], v[128:129] offset1:11
	v_pk_add_f32 v[54:55], v[120:121], v[58:59]
	v_pk_add_f32 v[58:59], v[104:105], v[58:59] neg_lo:[0,1] neg_hi:[0,1]
	v_pk_fma_f32 v[54:55], v[54:55], 0.5, v[82:83] op_sel_hi:[1,0,1] neg_lo:[1,0,0] neg_hi:[1,0,0]
	v_pk_add_f32 v[82:83], v[110:111], v[120:121] neg_lo:[0,1] neg_hi:[0,1]
	v_pk_mul_f32 v[104:105], v[122:123], s[16:17] op_sel_hi:[1,0]
	v_pk_add_f32 v[58:59], v[82:83], v[58:59]
	v_pk_mul_f32 v[82:83], v[126:127], s[14:15] op_sel_hi:[1,0]
	v_mov_b32_e32 v109, v125
	v_pk_add_f32 v[110:111], v[54:55], v[82:83] op_sel:[0,1] op_sel_hi:[1,0] neg_lo:[0,1] neg_hi:[0,1]
	v_pk_add_f32 v[54:55], v[54:55], v[82:83] op_sel:[0,1] op_sel_hi:[1,0]
	v_pk_add_f32 v[82:83], v[110:111], v[104:105] op_sel:[0,1] op_sel_hi:[1,0]
	v_pk_add_f32 v[54:55], v[54:55], v[104:105] op_sel:[0,1] op_sel_hi:[1,0] neg_lo:[0,1] neg_hi:[0,1]
	v_mov_b32_e32 v104, v82
	v_mov_b32_e32 v105, v55
	;; [unrolled: 1-line block ×3, first 2 shown]
	v_pk_fma_f32 v[104:105], v[58:59], s[12:13], v[104:105] op_sel_hi:[1,0,1]
	v_pk_fma_f32 v[54:55], v[58:59], s[12:13], v[54:55] op_sel_hi:[1,0,1]
	ds_write2_b64 v69, v[104:105], v[54:55] offset0:22 offset1:33
	v_pk_fma_f32 v[54:55], v[130:131], s[12:13], v[108:109] op_sel_hi:[1,0,1]
	ds_write_b64 v69, v[54:55] offset:352
	v_pk_add_f32 v[54:55], v[116:117], v[106:107]
	v_pk_add_f32 v[58:59], v[118:119], v[92:93] neg_lo:[0,1] neg_hi:[0,1]
	v_pk_fma_f32 v[54:55], v[54:55], 0.5, v[84:85] op_sel_hi:[1,0,1] neg_lo:[1,0,0] neg_hi:[1,0,0]
	v_pk_mul_f32 v[82:83], v[58:59], s[14:15] op_sel_hi:[1,0]
	v_pk_add_f32 v[104:105], v[116:117], v[106:107] neg_lo:[0,1] neg_hi:[0,1]
	v_pk_add_f32 v[110:111], v[118:119], v[116:117] neg_lo:[0,1] neg_hi:[0,1]
	v_pk_add_f32 v[120:121], v[92:93], v[106:107] neg_lo:[0,1] neg_hi:[0,1]
	v_pk_mul_f32 v[108:109], v[104:105], s[16:17] op_sel_hi:[1,0]
	v_pk_add_f32 v[110:111], v[110:111], v[120:121]
	v_pk_add_f32 v[120:121], v[54:55], v[82:83] op_sel:[0,1] op_sel_hi:[1,0]
	v_pk_add_f32 v[54:55], v[54:55], v[82:83] op_sel:[0,1] op_sel_hi:[1,0] neg_lo:[0,1] neg_hi:[0,1]
	v_pk_add_f32 v[82:83], v[120:121], v[108:109] op_sel:[0,1] op_sel_hi:[1,0]
	v_pk_add_f32 v[54:55], v[54:55], v[108:109] op_sel:[0,1] op_sel_hi:[1,0] neg_lo:[0,1] neg_hi:[0,1]
	v_mov_b32_e32 v108, v82
	v_mov_b32_e32 v109, v55
	v_pk_fma_f32 v[108:109], v[110:111], s[12:13], v[108:109] op_sel_hi:[1,0,1]
	ds_write2_b64 v15, v[88:89], v[108:109] offset1:11
	v_pk_add_f32 v[88:89], v[118:119], v[92:93]
	v_pk_add_f32 v[92:93], v[106:107], v[92:93] neg_lo:[0,1] neg_hi:[0,1]
	v_pk_fma_f32 v[84:85], v[88:89], 0.5, v[84:85] op_sel_hi:[1,0,1] neg_lo:[1,0,0] neg_hi:[1,0,0]
	v_pk_add_f32 v[88:89], v[116:117], v[118:119] neg_lo:[0,1] neg_hi:[0,1]
	v_pk_mul_f32 v[58:59], v[58:59], s[16:17] op_sel_hi:[1,0]
	v_pk_add_f32 v[88:89], v[88:89], v[92:93]
	v_pk_mul_f32 v[92:93], v[104:105], s[14:15] op_sel_hi:[1,0]
	v_mov_b32_e32 v55, v83
	v_pk_add_f32 v[104:105], v[84:85], v[92:93] op_sel:[0,1] op_sel_hi:[1,0] neg_lo:[0,1] neg_hi:[0,1]
	v_pk_add_f32 v[84:85], v[84:85], v[92:93] op_sel:[0,1] op_sel_hi:[1,0]
	v_pk_fma_f32 v[54:55], v[110:111], s[12:13], v[54:55] op_sel_hi:[1,0,1]
	v_pk_add_f32 v[84:85], v[84:85], v[58:59] op_sel:[0,1] op_sel_hi:[1,0] neg_lo:[0,1] neg_hi:[0,1]
	v_pk_add_f32 v[58:59], v[104:105], v[58:59] op_sel:[0,1] op_sel_hi:[1,0]
	v_mov_b32_e32 v93, v85
	v_mov_b32_e32 v92, v58
	;; [unrolled: 1-line block ×3, first 2 shown]
	v_pk_fma_f32 v[92:93], v[88:89], s[12:13], v[92:93] op_sel_hi:[1,0,1]
	v_pk_fma_f32 v[58:59], v[88:89], s[12:13], v[84:85] op_sel_hi:[1,0,1]
	ds_write2_b64 v15, v[92:93], v[58:59] offset0:22 offset1:33
	ds_write_b64 v15, v[54:55] offset:352
	v_pk_add_f32 v[54:55], v[90:91], v[114:115]
	v_pk_add_f32 v[58:59], v[112:113], v[94:95] neg_lo:[0,1] neg_hi:[0,1]
	v_pk_fma_f32 v[54:55], v[54:55], 0.5, v[60:61] op_sel_hi:[1,0,1] neg_lo:[1,0,0] neg_hi:[1,0,0]
	v_pk_mul_f32 v[82:83], v[58:59], s[14:15] op_sel_hi:[1,0]
	v_pk_add_f32 v[84:85], v[90:91], v[114:115] neg_lo:[0,1] neg_hi:[0,1]
	v_pk_add_f32 v[92:93], v[112:113], v[90:91] neg_lo:[0,1] neg_hi:[0,1]
	;; [unrolled: 1-line block ×3, first 2 shown]
	v_pk_mul_f32 v[88:89], v[84:85], s[16:17] op_sel_hi:[1,0]
	v_pk_add_f32 v[92:93], v[92:93], v[104:105]
	v_pk_add_f32 v[104:105], v[54:55], v[82:83] op_sel:[0,1] op_sel_hi:[1,0]
	v_pk_add_f32 v[54:55], v[54:55], v[82:83] op_sel:[0,1] op_sel_hi:[1,0] neg_lo:[0,1] neg_hi:[0,1]
	v_pk_add_f32 v[82:83], v[104:105], v[88:89] op_sel:[0,1] op_sel_hi:[1,0]
	v_pk_add_f32 v[54:55], v[54:55], v[88:89] op_sel:[0,1] op_sel_hi:[1,0] neg_lo:[0,1] neg_hi:[0,1]
	v_mov_b32_e32 v88, v82
	v_mov_b32_e32 v89, v55
	v_pk_fma_f32 v[88:89], v[92:93], s[12:13], v[88:89] op_sel_hi:[1,0,1]
	ds_write2_b64 v14, v[86:87], v[88:89] offset1:11
	v_pk_add_f32 v[86:87], v[112:113], v[94:95]
	v_pk_add_f32 v[88:89], v[114:115], v[94:95] neg_lo:[0,1] neg_hi:[0,1]
	v_pk_fma_f32 v[60:61], v[86:87], 0.5, v[60:61] op_sel_hi:[1,0,1] neg_lo:[1,0,0] neg_hi:[1,0,0]
	v_pk_add_f32 v[86:87], v[90:91], v[112:113] neg_lo:[0,1] neg_hi:[0,1]
	v_pk_mul_f32 v[84:85], v[84:85], s[14:15] op_sel_hi:[1,0]
	v_pk_add_f32 v[86:87], v[86:87], v[88:89]
	v_pk_mul_f32 v[58:59], v[58:59], s[16:17] op_sel_hi:[1,0]
	v_pk_add_f32 v[88:89], v[60:61], v[84:85] op_sel:[0,1] op_sel_hi:[1,0] neg_lo:[0,1] neg_hi:[0,1]
	v_pk_add_f32 v[60:61], v[60:61], v[84:85] op_sel:[0,1] op_sel_hi:[1,0]
	v_mov_b32_e32 v55, v83
	v_pk_add_f32 v[60:61], v[60:61], v[58:59] op_sel:[0,1] op_sel_hi:[1,0] neg_lo:[0,1] neg_hi:[0,1]
	v_pk_add_f32 v[58:59], v[88:89], v[58:59] op_sel:[0,1] op_sel_hi:[1,0]
	v_mov_b32_e32 v85, v61
	v_mov_b32_e32 v84, v58
	;; [unrolled: 1-line block ×3, first 2 shown]
	v_pk_fma_f32 v[84:85], v[86:87], s[12:13], v[84:85] op_sel_hi:[1,0,1]
	v_pk_fma_f32 v[58:59], v[86:87], s[12:13], v[60:61] op_sel_hi:[1,0,1]
	;; [unrolled: 1-line block ×3, first 2 shown]
	ds_write2_b64 v14, v[84:85], v[58:59] offset0:22 offset1:33
	ds_write_b64 v14, v[54:55] offset:352
	v_pk_add_f32 v[54:55], v[72:73], v[80:81]
	v_pk_add_f32 v[58:59], v[78:79], v[64:65] neg_lo:[0,1] neg_hi:[0,1]
	v_pk_fma_f32 v[54:55], v[54:55], 0.5, v[62:63] op_sel_hi:[1,0,1] neg_lo:[1,0,0] neg_hi:[1,0,0]
	v_pk_mul_f32 v[60:61], v[58:59], s[14:15] op_sel_hi:[1,0]
	v_pk_add_f32 v[82:83], v[72:73], v[80:81] neg_lo:[0,1] neg_hi:[0,1]
	v_pk_add_f32 v[86:87], v[78:79], v[72:73] neg_lo:[0,1] neg_hi:[0,1]
	;; [unrolled: 1-line block ×3, first 2 shown]
	v_pk_mul_f32 v[84:85], v[82:83], s[16:17] op_sel_hi:[1,0]
	v_pk_add_f32 v[86:87], v[86:87], v[88:89]
	v_pk_add_f32 v[88:89], v[54:55], v[60:61] op_sel:[0,1] op_sel_hi:[1,0]
	v_pk_add_f32 v[54:55], v[54:55], v[60:61] op_sel:[0,1] op_sel_hi:[1,0] neg_lo:[0,1] neg_hi:[0,1]
	v_pk_add_f32 v[60:61], v[88:89], v[84:85] op_sel:[0,1] op_sel_hi:[1,0]
	v_pk_add_f32 v[54:55], v[54:55], v[84:85] op_sel:[0,1] op_sel_hi:[1,0] neg_lo:[0,1] neg_hi:[0,1]
	v_mov_b32_e32 v84, v60
	v_mov_b32_e32 v85, v55
	v_pk_fma_f32 v[84:85], v[86:87], s[12:13], v[84:85] op_sel_hi:[1,0,1]
	ds_write2_b64 v13, v[98:99], v[84:85] offset1:11
	v_pk_add_f32 v[84:85], v[78:79], v[64:65]
	v_pk_add_f32 v[72:73], v[72:73], v[78:79] neg_lo:[0,1] neg_hi:[0,1]
	v_pk_add_f32 v[64:65], v[80:81], v[64:65] neg_lo:[0,1] neg_hi:[0,1]
	v_pk_fma_f32 v[62:63], v[84:85], 0.5, v[62:63] op_sel_hi:[1,0,1] neg_lo:[1,0,0] neg_hi:[1,0,0]
	v_pk_add_f32 v[64:65], v[72:73], v[64:65]
	v_pk_mul_f32 v[72:73], v[82:83], s[14:15] op_sel_hi:[1,0]
	v_mov_b32_e32 v55, v61
	v_pk_mul_f32 v[58:59], v[58:59], s[16:17] op_sel_hi:[1,0]
	v_pk_add_f32 v[78:79], v[62:63], v[72:73] op_sel:[0,1] op_sel_hi:[1,0] neg_lo:[0,1] neg_hi:[0,1]
	v_pk_add_f32 v[62:63], v[62:63], v[72:73] op_sel:[0,1] op_sel_hi:[1,0]
	v_pk_fma_f32 v[54:55], v[86:87], s[12:13], v[54:55] op_sel_hi:[1,0,1]
	v_pk_add_f32 v[62:63], v[62:63], v[58:59] op_sel:[0,1] op_sel_hi:[1,0] neg_lo:[0,1] neg_hi:[0,1]
	v_pk_add_f32 v[58:59], v[78:79], v[58:59] op_sel:[0,1] op_sel_hi:[1,0]
	ds_write_b64 v13, v[54:55] offset:352
	v_pk_add_f32 v[54:55], v[52:53], v[0:1]
	v_mov_b32_e32 v72, v58
	v_mov_b32_e32 v73, v63
	;; [unrolled: 1-line block ×3, first 2 shown]
	v_pk_add_f32 v[54:55], v[54:55], v[2:3]
	v_pk_fma_f32 v[72:73], v[64:65], s[12:13], v[72:73] op_sel_hi:[1,0,1]
	v_pk_fma_f32 v[58:59], v[64:65], s[12:13], v[62:63] op_sel_hi:[1,0,1]
	v_pk_add_f32 v[54:55], v[54:55], v[4:5]
	ds_write2_b64 v13, v[72:73], v[58:59] offset0:22 offset1:33
	v_pk_add_f32 v[54:55], v[54:55], v[6:7]
	v_pk_fma_f32 v[58:59], v[66:67], s[12:13], v[74:75] op_sel_hi:[1,0,1]
	ds_write2_b64 v12, v[54:55], v[58:59] offset1:11
	v_pk_add_f32 v[54:55], v[0:1], v[6:7]
	v_pk_add_f32 v[0:1], v[2:3], v[0:1] neg_lo:[0,1] neg_hi:[0,1]
	v_pk_fma_f32 v[52:53], v[54:55], 0.5, v[52:53] op_sel_hi:[1,0,1] neg_lo:[1,0,0] neg_hi:[1,0,0]
	v_pk_add_f32 v[2:3], v[4:5], v[6:7] neg_lo:[0,1] neg_hi:[0,1]
	v_pk_fma_f32 v[4:5], v[10:11], s[14:15], v[52:53] op_sel:[1,0,0] op_sel_hi:[0,0,1] neg_lo:[1,0,0] neg_hi:[1,0,0]
	v_pk_add_f32 v[0:1], v[0:1], v[2:3]
	v_pk_fma_f32 v[2:3], v[10:11], s[14:15], v[52:53] op_sel:[1,0,0] op_sel_hi:[0,0,1]
	v_pk_fma_f32 v[4:5], v[8:9], s[16:17], v[4:5] op_sel:[1,0,0] op_sel_hi:[0,0,1]
	v_pk_fma_f32 v[2:3], v[8:9], s[16:17], v[2:3] op_sel:[1,0,0] op_sel_hi:[0,0,1] neg_lo:[1,0,0] neg_hi:[1,0,0]
	v_mov_b32_e32 v6, v2
	v_mov_b32_e32 v7, v5
	;; [unrolled: 1-line block ×3, first 2 shown]
	v_pk_fma_f32 v[6:7], v[0:1], s[12:13], v[6:7] op_sel_hi:[1,0,1]
	v_pk_fma_f32 v[0:1], v[0:1], s[12:13], v[4:5] op_sel_hi:[1,0,1]
	v_lshlrev_b32_e32 v69, 5, v166
	ds_write2_b64 v12, v[0:1], v[6:7] offset0:22 offset1:33
	ds_write_b64 v12, v[56:57] offset:352
	s_waitcnt lgkmcnt(0)
	; wave barrier
	s_waitcnt lgkmcnt(0)
	global_load_dwordx4 v[52:55], v69, s[0:1] offset:368
	global_load_dwordx4 v[56:59], v69, s[0:1] offset:352
	s_movk_i32 s17, 0x95
	v_mul_lo_u16_sdwa v0, v96, s17 dst_sel:DWORD dst_unused:UNUSED_PAD src0_sel:BYTE_0 src1_sel:DWORD
	v_lshrrev_b16_e32 v0, 13, v0
	v_mul_lo_u16_e32 v0, 55, v0
	v_sub_u16_e32 v12, v96, v0
	v_mov_b32_e32 v0, 5
	v_lshlrev_b32_sdwa v1, v0, v12 dst_sel:DWORD dst_unused:UNUSED_PAD src0_sel:DWORD src1_sel:BYTE_0
	global_load_dwordx4 v[60:63], v1, s[0:1] offset:368
	global_load_dwordx4 v[64:67], v1, s[0:1] offset:352
	v_mul_lo_u16_sdwa v1, v102, s17 dst_sel:DWORD dst_unused:UNUSED_PAD src0_sel:BYTE_0 src1_sel:DWORD
	v_lshrrev_b16_e32 v1, 13, v1
	v_mul_lo_u16_e32 v1, 55, v1
	v_sub_u16_e32 v13, v102, v1
	v_lshlrev_b32_sdwa v0, v0, v13 dst_sel:DWORD dst_unused:UNUSED_PAD src0_sel:DWORD src1_sel:BYTE_0
	s_movk_i32 s17, 0x29e5
	global_load_dwordx4 v[72:75], v0, s[0:1] offset:368
	global_load_dwordx4 v[76:79], v0, s[0:1] offset:352
	v_mul_u32_u24_sdwa v0, v100, s17 dst_sel:DWORD dst_unused:UNUSED_PAD src0_sel:WORD_0 src1_sel:DWORD
	v_sub_u16_sdwa v1, v100, v0 dst_sel:DWORD dst_unused:UNUSED_PAD src0_sel:DWORD src1_sel:WORD_1
	v_lshrrev_b16_e32 v1, 1, v1
	v_add_u16_sdwa v0, v1, v0 dst_sel:DWORD dst_unused:UNUSED_PAD src0_sel:DWORD src1_sel:WORD_1
	v_lshrrev_b16_e32 v0, 5, v0
	v_mul_lo_u16_e32 v0, 55, v0
	v_sub_u16_e32 v14, v100, v0
	v_lshlrev_b16_e32 v156, 5, v14
	v_lshl_add_u64 v[0:1], s[0:1], 0, v[156:157]
	global_load_dwordx4 v[80:83], v[0:1], off offset:368
	global_load_dwordx4 v[88:91], v[0:1], off offset:352
	ds_read2_b64 v[92:95], v178 offset1:55
	ds_read2_b64 v[84:87], v160 offset0:92 offset1:147
	ds_read2_b64 v[104:107], v171 offset0:38 offset1:93
	;; [unrolled: 1-line block ×4, first 2 shown]
	s_waitcnt vmcnt(6) lgkmcnt(3)
	v_pk_mul_f32 v[0:1], v[86:87], v[56:57] op_sel:[0,1]
	s_nop 0
	v_pk_fma_f32 v[2:3], v[86:87], v[56:57], v[0:1] op_sel:[0,0,1] op_sel_hi:[1,1,0] neg_lo:[0,0,1] neg_hi:[0,0,1]
	v_pk_fma_f32 v[0:1], v[86:87], v[56:57], v[0:1] op_sel:[0,0,1] op_sel_hi:[1,0,0]
	v_mov_b32_e32 v98, v59
	v_mov_b32_e32 v3, v1
	s_waitcnt lgkmcnt(2)
	v_pk_mul_f32 v[0:1], v[104:105], v[98:99] op_sel_hi:[1,0]
	v_pk_mul_f32 v[98:99], v[106:107], v[98:99] op_sel_hi:[1,0]
	v_pk_fma_f32 v[8:9], v[104:105], v[58:59], v[0:1] op_sel:[0,0,1] op_sel_hi:[1,1,0] neg_lo:[0,0,1] neg_hi:[0,0,1]
	v_pk_fma_f32 v[0:1], v[104:105], v[58:59], v[0:1] op_sel:[0,0,1] op_sel_hi:[1,0,0]
	v_mov_b32_e32 v104, v55
	v_mov_b32_e32 v9, v1
	s_waitcnt lgkmcnt(1)
	v_pk_mul_f32 v[0:1], v[6:7], v[52:53] op_sel:[0,1]
	v_pk_add_f32 v[112:113], v[8:9], v[2:3] neg_lo:[0,1] neg_hi:[0,1]
	v_pk_fma_f32 v[10:11], v[6:7], v[52:53], v[0:1] op_sel:[0,0,1] op_sel_hi:[1,1,0] neg_lo:[0,0,1] neg_hi:[0,0,1]
	v_pk_fma_f32 v[0:1], v[6:7], v[52:53], v[0:1] op_sel:[0,0,1] op_sel_hi:[1,0,0]
	s_nop 0
	v_mov_b32_e32 v11, v1
	s_waitcnt lgkmcnt(0)
	v_pk_mul_f32 v[0:1], v[108:109], v[104:105] op_sel_hi:[1,0]
	v_pk_add_f32 v[86:87], v[8:9], v[10:11] neg_lo:[0,1] neg_hi:[0,1]
	v_pk_fma_f32 v[6:7], v[108:109], v[54:55], v[0:1] op_sel:[0,0,1] op_sel_hi:[1,1,0] neg_lo:[0,0,1] neg_hi:[0,0,1]
	v_pk_fma_f32 v[0:1], v[108:109], v[54:55], v[0:1] op_sel:[0,0,1] op_sel_hi:[1,0,0]
	s_nop 0
	v_mov_b32_e32 v7, v1
	v_pk_add_f32 v[108:109], v[2:3], v[6:7]
	v_pk_add_f32 v[114:115], v[10:11], v[6:7] neg_lo:[0,1] neg_hi:[0,1]
	v_pk_fma_f32 v[108:109], v[108:109], 0.5, v[92:93] op_sel_hi:[1,0,1] neg_lo:[1,0,0] neg_hi:[1,0,0]
	v_pk_add_f32 v[0:1], v[2:3], v[6:7] neg_lo:[0,1] neg_hi:[0,1]
	v_pk_add_f32 v[112:113], v[112:113], v[114:115]
	v_pk_fma_f32 v[114:115], v[86:87], s[14:15], v[108:109] op_sel:[1,0,0] op_sel_hi:[0,0,1] neg_lo:[1,0,0] neg_hi:[1,0,0]
	v_pk_fma_f32 v[108:109], v[86:87], s[14:15], v[108:109] op_sel:[1,0,0] op_sel_hi:[0,0,1]
	v_pk_fma_f32 v[108:109], v[0:1], s[16:17], v[108:109] op_sel:[1,0,0] op_sel_hi:[0,0,1] neg_lo:[1,0,0] neg_hi:[1,0,0]
	v_pk_fma_f32 v[114:115], v[0:1], s[16:17], v[114:115] op_sel:[1,0,0] op_sel_hi:[0,0,1]
	v_mov_b32_e32 v116, v114
	v_mov_b32_e32 v117, v109
	v_pk_fma_f32 v[132:133], v[112:113], s[12:13], v[116:117] op_sel_hi:[1,0,1]
	v_pk_add_f32 v[116:117], v[92:93], v[2:3]
	v_mov_b32_e32 v109, v115
	v_pk_add_f32 v[116:117], v[116:117], v[8:9]
	v_pk_fma_f32 v[108:109], v[112:113], s[12:13], v[108:109] op_sel_hi:[1,0,1]
	v_pk_add_f32 v[116:117], v[116:117], v[10:11]
	v_pk_add_f32 v[112:113], v[8:9], v[10:11]
	;; [unrolled: 1-line block ×3, first 2 shown]
	v_pk_fma_f32 v[92:93], v[112:113], 0.5, v[92:93] op_sel_hi:[1,0,1] neg_lo:[1,0,0] neg_hi:[1,0,0]
	v_pk_add_f32 v[2:3], v[2:3], v[8:9] neg_lo:[0,1] neg_hi:[0,1]
	v_pk_add_f32 v[6:7], v[6:7], v[10:11] neg_lo:[0,1] neg_hi:[0,1]
	s_nop 0
	v_pk_add_f32 v[2:3], v[2:3], v[6:7]
	v_pk_fma_f32 v[6:7], v[0:1], s[14:15], v[92:93] op_sel:[1,0,0] op_sel_hi:[0,0,1] neg_lo:[1,0,0] neg_hi:[1,0,0]
	v_pk_fma_f32 v[0:1], v[0:1], s[14:15], v[92:93] op_sel:[1,0,0] op_sel_hi:[0,0,1]
	v_pk_fma_f32 v[0:1], v[86:87], s[16:17], v[0:1] op_sel:[1,0,0] op_sel_hi:[0,0,1]
	v_pk_fma_f32 v[6:7], v[86:87], s[16:17], v[6:7] op_sel:[1,0,0] op_sel_hi:[0,0,1] neg_lo:[1,0,0] neg_hi:[1,0,0]
	v_mov_b32_e32 v8, v6
	v_mov_b32_e32 v9, v1
	v_pk_fma_f32 v[92:93], v[2:3], s[12:13], v[8:9] op_sel_hi:[1,0,1]
	ds_read2_b64 v[112:115], v168 offset0:184 offset1:239
	ds_read2_b64 v[116:119], v170 offset0:94 offset1:149
	ds_read_b64 v[8:9], v178 offset:10560
	v_mov_b32_e32 v1, v7
	v_pk_fma_f32 v[136:137], v[2:3], s[12:13], v[0:1] op_sel_hi:[1,0,1]
	v_mov_b32_e32 v0, 3
	s_waitcnt vmcnt(0) lgkmcnt(2)
	v_pk_mul_f32 v[2:3], v[114:115], v[88:89] op_sel:[0,1]
	v_lshlrev_b32_sdwa v97, v0, v12 dst_sel:DWORD dst_unused:UNUSED_PAD src0_sel:DWORD src1_sel:BYTE_0
	v_lshlrev_b32_sdwa v15, v0, v13 dst_sel:DWORD dst_unused:UNUSED_PAD src0_sel:DWORD src1_sel:BYTE_0
	v_pk_fma_f32 v[0:1], v[114:115], v[88:89], v[2:3] op_sel:[0,0,1] op_sel_hi:[1,1,0] neg_lo:[0,0,1] neg_hi:[0,0,1]
	v_pk_fma_f32 v[2:3], v[114:115], v[88:89], v[2:3] op_sel:[0,0,1] op_sel_hi:[1,0,0]
	v_add_u32_e32 v12, 0x1000, v97
	v_mov_b32_e32 v2, v91
	v_pk_mul_f32 v[6:7], v[4:5], v[2:3] op_sel_hi:[1,0]
	v_mov_b32_e32 v1, v3
	v_pk_fma_f32 v[2:3], v[4:5], v[90:91], v[6:7] op_sel:[0,0,1] op_sel_hi:[1,1,0] neg_lo:[0,0,1] neg_hi:[0,0,1]
	v_pk_fma_f32 v[4:5], v[4:5], v[90:91], v[6:7] op_sel:[0,0,1] op_sel_hi:[1,0,0]
	s_waitcnt lgkmcnt(1)
	v_pk_mul_f32 v[6:7], v[118:119], v[80:81] op_sel:[0,1]
	v_mov_b32_e32 v3, v5
	v_pk_fma_f32 v[4:5], v[118:119], v[80:81], v[6:7] op_sel:[0,0,1] op_sel_hi:[1,1,0] neg_lo:[0,0,1] neg_hi:[0,0,1]
	v_pk_fma_f32 v[6:7], v[118:119], v[80:81], v[6:7] op_sel:[0,0,1] op_sel_hi:[1,0,0]
	v_pk_add_f32 v[114:115], v[0:1], v[2:3] neg_lo:[0,1] neg_hi:[0,1]
	v_mov_b32_e32 v6, v83
	s_waitcnt lgkmcnt(0)
	v_pk_mul_f32 v[10:11], v[8:9], v[6:7] op_sel_hi:[1,0]
	v_mov_b32_e32 v5, v7
	v_pk_fma_f32 v[6:7], v[8:9], v[82:83], v[10:11] op_sel:[0,0,1] op_sel_hi:[1,1,0] neg_lo:[0,0,1] neg_hi:[0,0,1]
	v_pk_fma_f32 v[8:9], v[8:9], v[82:83], v[10:11] op_sel:[0,0,1] op_sel_hi:[1,0,0]
	v_pk_add_f32 v[10:11], v[2:3], v[4:5] neg_lo:[0,1] neg_hi:[0,1]
	v_mov_b32_e32 v7, v9
	v_pk_add_f32 v[8:9], v[2:3], v[4:5]
	v_pk_add_f32 v[118:119], v[6:7], v[4:5] neg_lo:[0,1] neg_hi:[0,1]
	v_pk_fma_f32 v[86:87], v[8:9], 0.5, v[84:85] op_sel_hi:[1,0,1] neg_lo:[1,0,0] neg_hi:[1,0,0]
	v_pk_add_f32 v[8:9], v[0:1], v[6:7] neg_lo:[0,1] neg_hi:[0,1]
	v_pk_add_f32 v[138:139], v[114:115], v[118:119]
	v_pk_fma_f32 v[114:115], v[8:9], s[14:15], v[86:87] op_sel:[1,0,0] op_sel_hi:[0,0,1] neg_lo:[1,0,0] neg_hi:[1,0,0]
	ds_read2_b64 v[118:121], v178 offset0:110 offset1:165
	ds_read2_b64 v[122:125], v171 offset0:148 offset1:203
	;; [unrolled: 1-line block ×3, first 2 shown]
	v_pk_fma_f32 v[142:143], v[10:11], s[16:17], v[114:115] op_sel:[1,0,0] op_sel_hi:[0,0,1] neg_lo:[1,0,0] neg_hi:[1,0,0]
	v_pk_mul_f32 v[114:115], v[112:113], v[76:77] op_sel:[0,1]
	v_pk_fma_f32 v[86:87], v[8:9], s[14:15], v[86:87] op_sel:[1,0,0] op_sel_hi:[0,0,1]
	v_pk_fma_f32 v[144:145], v[112:113], v[76:77], v[114:115] op_sel:[0,0,1] op_sel_hi:[1,1,0] neg_lo:[0,0,1] neg_hi:[0,0,1]
	v_pk_fma_f32 v[112:113], v[112:113], v[76:77], v[114:115] op_sel:[0,0,1] op_sel_hi:[1,0,0]
	v_pk_fma_f32 v[140:141], v[10:11], s[16:17], v[86:87] op_sel:[1,0,0] op_sel_hi:[0,0,1]
	v_mov_b32_e32 v112, v79
	v_mov_b32_e32 v145, v113
	s_waitcnt lgkmcnt(1)
	v_pk_mul_f32 v[112:113], v[124:125], v[112:113] op_sel_hi:[1,0]
	v_lshlrev_b32_e32 v13, 3, v14
	v_pk_fma_f32 v[146:147], v[124:125], v[78:79], v[112:113] op_sel:[0,0,1] op_sel_hi:[1,1,0] neg_lo:[0,0,1] neg_hi:[0,0,1]
	v_pk_fma_f32 v[112:113], v[124:125], v[78:79], v[112:113] op_sel:[0,0,1] op_sel_hi:[1,0,0]
	v_mov_b32_e32 v87, v141
	v_mov_b32_e32 v147, v113
	v_pk_mul_f32 v[112:113], v[116:117], v[72:73] op_sel:[0,1]
	v_mov_b32_e32 v141, v143
	v_pk_fma_f32 v[124:125], v[116:117], v[72:73], v[112:113] op_sel:[0,0,1] op_sel_hi:[1,1,0] neg_lo:[0,0,1] neg_hi:[0,0,1]
	v_pk_fma_f32 v[112:113], v[116:117], v[72:73], v[112:113] op_sel:[0,0,1] op_sel_hi:[1,0,0]
	v_mov_b32_e32 v86, v142
	v_mov_b32_e32 v112, v75
	;; [unrolled: 1-line block ×3, first 2 shown]
	s_waitcnt lgkmcnt(0)
	v_pk_mul_f32 v[112:113], v[128:129], v[112:113] op_sel_hi:[1,0]
	v_pk_fma_f32 v[86:87], v[138:139], s[12:13], v[86:87] op_sel_hi:[1,0,1]
	v_pk_fma_f32 v[116:117], v[128:129], v[74:75], v[112:113] op_sel:[0,0,1] op_sel_hi:[1,1,0] neg_lo:[0,0,1] neg_hi:[0,0,1]
	v_pk_fma_f32 v[112:113], v[128:129], v[74:75], v[112:113] op_sel:[0,0,1] op_sel_hi:[1,0,0]
	v_accvgpr_write_b32 a85, v97
	v_mov_b32_e32 v117, v113
	v_pk_add_f32 v[112:113], v[120:121], v[144:145]
	v_accvgpr_write_b32 a81, v15
	v_pk_add_f32 v[112:113], v[112:113], v[146:147]
	v_accvgpr_write_b32 a80, v13
	v_pk_add_f32 v[112:113], v[112:113], v[124:125]
	s_nop 0
	v_pk_add_f32 v[148:149], v[112:113], v[116:117]
	ds_read2_b64 v[112:115], v168 offset0:74 offset1:129
	ds_read2_b64 v[128:131], v169 offset0:112 offset1:167
	s_waitcnt lgkmcnt(0)
	; wave barrier
	s_waitcnt lgkmcnt(0)
	ds_write2_b64 v178, v[134:135], v[136:137] offset1:55
	ds_write2_b64 v178, v[132:133], v[108:109] offset0:110 offset1:165
	v_pk_mul_f32 v[150:151], v[114:115], v[64:65] op_sel:[0,1]
	s_nop 0
	v_pk_fma_f32 v[152:153], v[114:115], v[64:65], v[150:151] op_sel:[0,0,1] op_sel_hi:[1,1,0] neg_lo:[0,0,1] neg_hi:[0,0,1]
	v_pk_fma_f32 v[114:115], v[114:115], v[64:65], v[150:151] op_sel:[0,0,1] op_sel_hi:[1,0,0]
	s_nop 0
	v_mov_b32_e32 v114, v67
	v_mov_b32_e32 v153, v115
	v_pk_mul_f32 v[114:115], v[122:123], v[114:115] op_sel_hi:[1,0]
	s_nop 0
	v_pk_fma_f32 v[150:151], v[122:123], v[66:67], v[114:115] op_sel:[0,0,1] op_sel_hi:[1,1,0] neg_lo:[0,0,1] neg_hi:[0,0,1]
	v_pk_fma_f32 v[114:115], v[122:123], v[66:67], v[114:115] op_sel:[0,0,1] op_sel_hi:[1,0,0]
	s_nop 0
	v_mov_b32_e32 v151, v115
	v_pk_mul_f32 v[114:115], v[130:131], v[60:61] op_sel:[0,1]
	s_nop 0
	v_pk_fma_f32 v[122:123], v[130:131], v[60:61], v[114:115] op_sel:[0,0,1] op_sel_hi:[1,1,0] neg_lo:[0,0,1] neg_hi:[0,0,1]
	v_pk_fma_f32 v[114:115], v[130:131], v[60:61], v[114:115] op_sel:[0,0,1] op_sel_hi:[1,0,0]
	s_nop 0
	v_mov_b32_e32 v114, v63
	v_mov_b32_e32 v123, v115
	v_pk_mul_f32 v[114:115], v[126:127], v[114:115] op_sel_hi:[1,0]
	s_nop 0
	v_pk_fma_f32 v[130:131], v[126:127], v[62:63], v[114:115] op_sel:[0,0,1] op_sel_hi:[1,1,0] neg_lo:[0,0,1] neg_hi:[0,0,1]
	v_pk_fma_f32 v[114:115], v[126:127], v[62:63], v[114:115] op_sel:[0,0,1] op_sel_hi:[1,0,0]
	v_pk_mul_f32 v[126:127], v[112:113], v[56:57] op_sel:[0,1]
	v_mov_b32_e32 v131, v115
	v_pk_fma_f32 v[154:155], v[112:113], v[56:57], v[126:127] op_sel:[0,0,1] op_sel_hi:[1,1,0] neg_lo:[0,0,1] neg_hi:[0,0,1]
	v_pk_fma_f32 v[112:113], v[112:113], v[56:57], v[126:127] op_sel:[0,0,1] op_sel_hi:[1,0,0]
	v_pk_add_f32 v[114:115], v[118:119], v[152:153]
	v_mov_b32_e32 v155, v113
	v_pk_fma_f32 v[112:113], v[106:107], v[58:59], v[98:99] op_sel:[0,0,1] op_sel_hi:[1,1,0] neg_lo:[0,0,1] neg_hi:[0,0,1]
	v_pk_fma_f32 v[98:99], v[106:107], v[58:59], v[98:99] op_sel:[0,0,1] op_sel_hi:[1,0,0]
	v_pk_add_f32 v[108:109], v[94:95], v[154:155]
	v_mov_b32_e32 v113, v99
	v_pk_mul_f32 v[98:99], v[128:129], v[52:53] op_sel:[0,1]
	v_pk_add_f32 v[108:109], v[108:109], v[112:113]
	v_pk_fma_f32 v[106:107], v[128:129], v[52:53], v[98:99] op_sel:[0,0,1] op_sel_hi:[1,1,0] neg_lo:[0,0,1] neg_hi:[0,0,1]
	v_pk_fma_f32 v[98:99], v[128:129], v[52:53], v[98:99] op_sel:[0,0,1] op_sel_hi:[1,0,0]
	v_pk_add_f32 v[128:129], v[154:155], v[112:113] neg_lo:[0,1] neg_hi:[0,1]
	v_mov_b32_e32 v107, v99
	v_pk_mul_f32 v[98:99], v[110:111], v[104:105] op_sel_hi:[1,0]
	v_pk_add_f32 v[126:127], v[112:113], v[106:107] neg_lo:[0,1] neg_hi:[0,1]
	v_pk_fma_f32 v[104:105], v[110:111], v[54:55], v[98:99] op_sel:[0,0,1] op_sel_hi:[1,1,0] neg_lo:[0,0,1] neg_hi:[0,0,1]
	v_pk_fma_f32 v[98:99], v[110:111], v[54:55], v[98:99] op_sel:[0,0,1] op_sel_hi:[1,0,0]
	v_pk_add_f32 v[108:109], v[108:109], v[106:107]
	v_mov_b32_e32 v105, v99
	v_pk_add_f32 v[98:99], v[112:113], v[106:107]
	v_pk_add_f32 v[110:111], v[154:155], v[104:105] neg_lo:[0,1] neg_hi:[0,1]
	v_pk_fma_f32 v[98:99], v[98:99], 0.5, v[94:95] op_sel_hi:[1,0,1] neg_lo:[1,0,0] neg_hi:[1,0,0]
	v_pk_add_f32 v[158:159], v[104:105], v[106:107] neg_lo:[0,1] neg_hi:[0,1]
	v_pk_add_f32 v[108:109], v[108:109], v[104:105]
	v_pk_add_f32 v[128:129], v[128:129], v[158:159]
	v_pk_fma_f32 v[158:159], v[110:111], s[14:15], v[98:99] op_sel:[1,0,0] op_sel_hi:[0,0,1] neg_lo:[1,0,0] neg_hi:[1,0,0]
	v_pk_fma_f32 v[98:99], v[110:111], s[14:15], v[98:99] op_sel:[1,0,0] op_sel_hi:[0,0,1]
	v_pk_fma_f32 v[98:99], v[126:127], s[16:17], v[98:99] op_sel:[1,0,0] op_sel_hi:[0,0,1]
	v_pk_fma_f32 v[158:159], v[126:127], s[16:17], v[158:159] op_sel:[1,0,0] op_sel_hi:[0,0,1] neg_lo:[1,0,0] neg_hi:[1,0,0]
	v_mov_b32_e32 v163, v99
	v_mov_b32_e32 v99, v159
	ds_write2_b64 v160, v[92:93], v[108:109] offset0:92 offset1:147
	v_pk_fma_f32 v[92:93], v[128:129], s[12:13], v[98:99] op_sel_hi:[1,0,1]
	v_pk_add_f32 v[98:99], v[154:155], v[104:105]
	v_pk_add_f32 v[104:105], v[106:107], v[104:105] neg_lo:[0,1] neg_hi:[0,1]
	v_pk_fma_f32 v[94:95], v[98:99], 0.5, v[94:95] op_sel_hi:[1,0,1] neg_lo:[1,0,0] neg_hi:[1,0,0]
	v_pk_add_f32 v[98:99], v[112:113], v[154:155] neg_lo:[0,1] neg_hi:[0,1]
	v_mov_b32_e32 v162, v158
	v_pk_add_f32 v[98:99], v[98:99], v[104:105]
	v_pk_fma_f32 v[104:105], v[126:127], s[14:15], v[94:95] op_sel:[1,0,0] op_sel_hi:[0,0,1]
	v_pk_fma_f32 v[94:95], v[126:127], s[14:15], v[94:95] op_sel:[1,0,0] op_sel_hi:[0,0,1] neg_lo:[1,0,0] neg_hi:[1,0,0]
	v_pk_fma_f32 v[94:95], v[110:111], s[16:17], v[94:95] op_sel:[1,0,0] op_sel_hi:[0,0,1]
	v_pk_fma_f32 v[104:105], v[110:111], s[16:17], v[104:105] op_sel:[1,0,0] op_sel_hi:[0,0,1] neg_lo:[1,0,0] neg_hi:[1,0,0]
	v_mov_b32_e32 v107, v95
	v_mov_b32_e32 v95, v105
	;; [unrolled: 1-line block ×3, first 2 shown]
	v_pk_fma_f32 v[94:95], v[98:99], s[12:13], v[94:95] op_sel_hi:[1,0,1]
	v_pk_fma_f32 v[162:163], v[128:129], s[12:13], v[162:163] op_sel_hi:[1,0,1]
	;; [unrolled: 1-line block ×3, first 2 shown]
	ds_write2_b64 v168, v[92:93], v[94:95] offset0:74 offset1:129
	ds_write2_b64 v168, v[106:107], v[162:163] offset0:184 offset1:239
	v_pk_add_f32 v[92:93], v[150:151], v[122:123]
	v_pk_add_f32 v[94:95], v[152:153], v[130:131] neg_lo:[0,1] neg_hi:[0,1]
	v_pk_fma_f32 v[92:93], v[92:93], 0.5, v[118:119] op_sel_hi:[1,0,1] neg_lo:[1,0,0] neg_hi:[1,0,0]
	v_pk_mul_f32 v[98:99], v[94:95], s[14:15] op_sel_hi:[1,0]
	v_pk_add_f32 v[104:105], v[150:151], v[122:123] neg_lo:[0,1] neg_hi:[0,1]
	v_pk_add_f32 v[108:109], v[152:153], v[150:151] neg_lo:[0,1] neg_hi:[0,1]
	v_pk_add_f32 v[110:111], v[130:131], v[122:123] neg_lo:[0,1] neg_hi:[0,1]
	v_pk_mul_f32 v[106:107], v[104:105], s[16:17] op_sel_hi:[1,0]
	v_pk_add_f32 v[108:109], v[108:109], v[110:111]
	v_pk_add_f32 v[110:111], v[92:93], v[98:99] op_sel:[0,1] op_sel_hi:[1,0]
	v_pk_add_f32 v[92:93], v[92:93], v[98:99] op_sel:[0,1] op_sel_hi:[1,0] neg_lo:[0,1] neg_hi:[0,1]
	v_pk_add_f32 v[114:115], v[114:115], v[150:151]
	v_pk_add_f32 v[92:93], v[92:93], v[106:107] op_sel:[0,1] op_sel_hi:[1,0] neg_lo:[0,1] neg_hi:[0,1]
	v_pk_add_f32 v[98:99], v[110:111], v[106:107] op_sel:[0,1] op_sel_hi:[1,0]
	v_pk_add_f32 v[114:115], v[114:115], v[122:123]
	v_mov_b32_e32 v106, v98
	v_mov_b32_e32 v107, v93
	v_pk_add_f32 v[114:115], v[114:115], v[130:131]
	v_pk_fma_f32 v[106:107], v[108:109], s[12:13], v[106:107] op_sel_hi:[1,0,1]
	ds_write2_b64 v12, v[114:115], v[106:107] offset0:38 offset1:93
	v_pk_add_f32 v[106:107], v[152:153], v[130:131]
	v_pk_add_f32 v[110:111], v[150:151], v[152:153] neg_lo:[0,1] neg_hi:[0,1]
	v_pk_fma_f32 v[106:107], v[106:107], 0.5, v[118:119] op_sel_hi:[1,0,1] neg_lo:[1,0,0] neg_hi:[1,0,0]
	v_pk_add_f32 v[112:113], v[122:123], v[130:131] neg_lo:[0,1] neg_hi:[0,1]
	v_pk_mul_f32 v[104:105], v[104:105], s[14:15] op_sel_hi:[1,0]
	v_pk_add_f32 v[110:111], v[110:111], v[112:113]
	v_pk_mul_f32 v[94:95], v[94:95], s[16:17] op_sel_hi:[1,0]
	v_pk_add_f32 v[112:113], v[106:107], v[104:105] op_sel:[0,1] op_sel_hi:[1,0] neg_lo:[0,1] neg_hi:[0,1]
	v_pk_add_f32 v[104:105], v[106:107], v[104:105] op_sel:[0,1] op_sel_hi:[1,0]
	v_mov_b32_e32 v93, v99
	v_pk_add_f32 v[104:105], v[104:105], v[94:95] op_sel:[0,1] op_sel_hi:[1,0] neg_lo:[0,1] neg_hi:[0,1]
	v_pk_add_f32 v[94:95], v[112:113], v[94:95] op_sel:[0,1] op_sel_hi:[1,0]
	v_mov_b32_e32 v107, v105
	v_mov_b32_e32 v106, v94
	;; [unrolled: 1-line block ×3, first 2 shown]
	v_pk_fma_f32 v[106:107], v[110:111], s[12:13], v[106:107] op_sel_hi:[1,0,1]
	v_pk_fma_f32 v[94:95], v[110:111], s[12:13], v[104:105] op_sel_hi:[1,0,1]
	;; [unrolled: 1-line block ×3, first 2 shown]
	ds_write2_b64 v12, v[106:107], v[94:95] offset0:148 offset1:203
	ds_write_b64 v97, v[92:93] offset:6160
	v_pk_add_f32 v[92:93], v[146:147], v[124:125]
	v_pk_add_f32 v[94:95], v[144:145], v[116:117] neg_lo:[0,1] neg_hi:[0,1]
	v_pk_fma_f32 v[92:93], v[92:93], 0.5, v[120:121] op_sel_hi:[1,0,1] neg_lo:[1,0,0] neg_hi:[1,0,0]
	v_pk_mul_f32 v[98:99], v[94:95], s[14:15] op_sel_hi:[1,0]
	v_pk_add_f32 v[104:105], v[146:147], v[124:125] neg_lo:[0,1] neg_hi:[0,1]
	v_pk_add_f32 v[108:109], v[144:145], v[146:147] neg_lo:[0,1] neg_hi:[0,1]
	;; [unrolled: 1-line block ×3, first 2 shown]
	v_pk_mul_f32 v[106:107], v[104:105], s[16:17] op_sel_hi:[1,0]
	v_pk_add_f32 v[108:109], v[108:109], v[110:111]
	v_pk_add_f32 v[110:111], v[92:93], v[98:99] op_sel:[0,1] op_sel_hi:[1,0]
	v_pk_add_f32 v[92:93], v[92:93], v[98:99] op_sel:[0,1] op_sel_hi:[1,0] neg_lo:[0,1] neg_hi:[0,1]
	v_pk_add_f32 v[98:99], v[110:111], v[106:107] op_sel:[0,1] op_sel_hi:[1,0]
	v_pk_add_f32 v[92:93], v[92:93], v[106:107] op_sel:[0,1] op_sel_hi:[1,0] neg_lo:[0,1] neg_hi:[0,1]
	v_mov_b32_e32 v106, v98
	v_mov_b32_e32 v107, v93
	v_pk_fma_f32 v[106:107], v[108:109], s[12:13], v[106:107] op_sel_hi:[1,0,1]
	v_add_u32_e32 v12, 0x1800, v15
	ds_write2_b64 v12, v[148:149], v[106:107] offset0:57 offset1:112
	v_pk_add_f32 v[106:107], v[144:145], v[116:117]
	v_pk_add_f32 v[110:111], v[146:147], v[144:145] neg_lo:[0,1] neg_hi:[0,1]
	v_pk_fma_f32 v[106:107], v[106:107], 0.5, v[120:121] op_sel_hi:[1,0,1] neg_lo:[1,0,0] neg_hi:[1,0,0]
	v_pk_add_f32 v[112:113], v[124:125], v[116:117] neg_lo:[0,1] neg_hi:[0,1]
	v_pk_mul_f32 v[104:105], v[104:105], s[14:15] op_sel_hi:[1,0]
	v_mov_b32_e32 v93, v99
	v_pk_add_f32 v[110:111], v[110:111], v[112:113]
	v_pk_mul_f32 v[94:95], v[94:95], s[16:17] op_sel_hi:[1,0]
	v_pk_add_f32 v[112:113], v[106:107], v[104:105] op_sel:[0,1] op_sel_hi:[1,0] neg_lo:[0,1] neg_hi:[0,1]
	v_pk_add_f32 v[104:105], v[106:107], v[104:105] op_sel:[0,1] op_sel_hi:[1,0]
	v_pk_fma_f32 v[92:93], v[108:109], s[12:13], v[92:93] op_sel_hi:[1,0,1]
	v_pk_add_f32 v[104:105], v[104:105], v[94:95] op_sel:[0,1] op_sel_hi:[1,0] neg_lo:[0,1] neg_hi:[0,1]
	v_pk_add_f32 v[94:95], v[112:113], v[94:95] op_sel:[0,1] op_sel_hi:[1,0]
	ds_write_b64 v15, v[92:93] offset:8360
	v_pk_add_f32 v[92:93], v[84:85], v[0:1]
	v_mov_b32_e32 v106, v94
	v_mov_b32_e32 v107, v105
	;; [unrolled: 1-line block ×3, first 2 shown]
	v_pk_add_f32 v[92:93], v[92:93], v[2:3]
	v_pk_fma_f32 v[106:107], v[110:111], s[12:13], v[106:107] op_sel_hi:[1,0,1]
	v_pk_fma_f32 v[94:95], v[110:111], s[12:13], v[104:105] op_sel_hi:[1,0,1]
	v_pk_add_f32 v[92:93], v[92:93], v[4:5]
	ds_write2_b64 v12, v[106:107], v[94:95] offset0:167 offset1:222
	v_pk_add_f32 v[92:93], v[92:93], v[6:7]
	v_pk_fma_f32 v[94:95], v[138:139], s[12:13], v[140:141] op_sel_hi:[1,0,1]
	v_add_u32_e32 v12, 0x2000, v13
	ds_write2_b64 v12, v[92:93], v[94:95] offset0:76 offset1:131
	v_pk_add_f32 v[92:93], v[0:1], v[6:7]
	v_pk_add_f32 v[0:1], v[2:3], v[0:1] neg_lo:[0,1] neg_hi:[0,1]
	v_pk_fma_f32 v[84:85], v[92:93], 0.5, v[84:85] op_sel_hi:[1,0,1] neg_lo:[1,0,0] neg_hi:[1,0,0]
	v_pk_add_f32 v[2:3], v[4:5], v[6:7] neg_lo:[0,1] neg_hi:[0,1]
	v_pk_fma_f32 v[4:5], v[10:11], s[14:15], v[84:85] op_sel:[1,0,0] op_sel_hi:[0,0,1] neg_lo:[1,0,0] neg_hi:[1,0,0]
	v_pk_add_f32 v[0:1], v[0:1], v[2:3]
	v_pk_fma_f32 v[2:3], v[10:11], s[14:15], v[84:85] op_sel:[1,0,0] op_sel_hi:[0,0,1]
	v_pk_fma_f32 v[4:5], v[8:9], s[16:17], v[4:5] op_sel:[1,0,0] op_sel_hi:[0,0,1]
	v_pk_fma_f32 v[2:3], v[8:9], s[16:17], v[2:3] op_sel:[1,0,0] op_sel_hi:[0,0,1] neg_lo:[1,0,0] neg_hi:[1,0,0]
	v_mov_b32_e32 v6, v2
	v_mov_b32_e32 v7, v5
	;; [unrolled: 1-line block ×3, first 2 shown]
	v_pk_fma_f32 v[6:7], v[0:1], s[12:13], v[6:7] op_sel_hi:[1,0,1]
	v_pk_fma_f32 v[0:1], v[0:1], s[12:13], v[4:5] op_sel_hi:[1,0,1]
	ds_write2_b64 v12, v[0:1], v[6:7] offset0:186 offset1:241
	v_lshlrev_b32_e32 v0, 5, v68
	ds_write_b64 v13, v[86:87] offset:10560
	s_waitcnt lgkmcnt(0)
	; wave barrier
	s_waitcnt lgkmcnt(0)
	global_load_dwordx4 v[120:123], v69, s[0:1] offset:2128
	global_load_dwordx4 v[124:127], v69, s[0:1] offset:2112
	;; [unrolled: 1-line block ×4, first 2 shown]
	v_lshlrev_b32_e32 v0, 5, v96
	global_load_dwordx4 v[96:99], v0, s[0:1] offset:2128
	global_load_dwordx4 v[104:107], v0, s[0:1] offset:2112
	v_lshlrev_b32_e32 v0, 5, v102
	global_load_dwordx4 v[84:87], v0, s[0:1] offset:2128
	global_load_dwordx4 v[92:95], v0, s[0:1] offset:2112
	;; [unrolled: 3-line block ×3, first 2 shown]
	ds_read2_b64 v[132:135], v160 offset0:92 offset1:147
	ds_read2_b64 v[140:143], v168 offset0:184 offset1:239
	;; [unrolled: 1-line block ×4, first 2 shown]
	ds_read_b64 v[8:9], v178 offset:10560
	v_mov_b32_e32 v12, v166
	v_lshlrev_b32_e32 v156, 3, v12
	s_waitcnt vmcnt(1) lgkmcnt(1)
	v_pk_mul_f32 v[6:7], v[138:139], v[100:101] op_sel:[0,1]
	s_waitcnt vmcnt(0)
	v_pk_mul_f32 v[2:3], v[142:143], v[112:113] op_sel:[0,1]
	s_nop 0
	v_pk_fma_f32 v[0:1], v[142:143], v[112:113], v[2:3] op_sel:[0,0,1] op_sel_hi:[1,1,0] neg_lo:[0,0,1] neg_hi:[0,0,1]
	v_pk_fma_f32 v[2:3], v[142:143], v[112:113], v[2:3] op_sel:[0,0,1] op_sel_hi:[1,0,0]
	s_nop 0
	v_mov_b32_e32 v2, v115
	v_pk_mul_f32 v[4:5], v[144:145], v[2:3] op_sel_hi:[1,0]
	v_mov_b32_e32 v1, v3
	v_pk_fma_f32 v[2:3], v[144:145], v[114:115], v[4:5] op_sel:[0,0,1] op_sel_hi:[1,1,0] neg_lo:[0,0,1] neg_hi:[0,0,1]
	v_pk_fma_f32 v[4:5], v[144:145], v[114:115], v[4:5] op_sel:[0,0,1] op_sel_hi:[1,0,0]
	ds_read2_b64 v[142:145], v178 offset1:55
	ds_read2_b64 v[148:151], v168 offset0:74 offset1:129
	ds_read2_b64 v[152:155], v171 offset0:38 offset1:93
	;; [unrolled: 1-line block ×4, first 2 shown]
	v_mov_b32_e32 v3, v5
	v_pk_fma_f32 v[4:5], v[138:139], v[100:101], v[6:7] op_sel:[0,0,1] op_sel_hi:[1,1,0] neg_lo:[0,0,1] neg_hi:[0,0,1]
	v_pk_fma_f32 v[6:7], v[138:139], v[100:101], v[6:7] op_sel:[0,0,1] op_sel_hi:[1,0,0]
	v_pk_add_f32 v[128:129], v[2:3], v[0:1] neg_lo:[0,1] neg_hi:[0,1]
	v_mov_b32_e32 v6, v103
	s_waitcnt lgkmcnt(5)
	v_pk_mul_f32 v[10:11], v[8:9], v[6:7] op_sel_hi:[1,0]
	v_mov_b32_e32 v5, v7
	v_pk_fma_f32 v[6:7], v[8:9], v[102:103], v[10:11] op_sel:[0,0,1] op_sel_hi:[1,1,0] neg_lo:[0,0,1] neg_hi:[0,0,1]
	v_pk_fma_f32 v[8:9], v[8:9], v[102:103], v[10:11] op_sel:[0,0,1] op_sel_hi:[1,0,0]
	v_pk_add_f32 v[10:11], v[2:3], v[4:5] neg_lo:[0,1] neg_hi:[0,1]
	v_mov_b32_e32 v7, v9
	v_pk_add_f32 v[68:69], v[0:1], v[6:7]
	v_pk_add_f32 v[130:131], v[4:5], v[6:7] neg_lo:[0,1] neg_hi:[0,1]
	v_pk_fma_f32 v[68:69], v[68:69], 0.5, v[132:133] op_sel_hi:[1,0,1] neg_lo:[1,0,0] neg_hi:[1,0,0]
	v_pk_add_f32 v[8:9], v[0:1], v[6:7] neg_lo:[0,1] neg_hi:[0,1]
	v_pk_add_f32 v[130:131], v[128:129], v[130:131]
	v_pk_fma_f32 v[128:129], v[10:11], s[14:15], v[68:69] op_sel:[1,0,0] op_sel_hi:[0,0,1] neg_lo:[1,0,0] neg_hi:[1,0,0]
	v_pk_fma_f32 v[68:69], v[10:11], s[14:15], v[68:69] op_sel:[1,0,0] op_sel_hi:[0,0,1]
	v_pk_fma_f32 v[68:69], v[8:9], s[16:17], v[68:69] op_sel:[1,0,0] op_sel_hi:[0,0,1] neg_lo:[1,0,0] neg_hi:[1,0,0]
	v_pk_fma_f32 v[138:139], v[8:9], s[16:17], v[128:129] op_sel:[1,0,0] op_sel_hi:[0,0,1]
	v_mov_b32_e32 v128, v138
	v_mov_b32_e32 v129, v69
	;; [unrolled: 1-line block ×3, first 2 shown]
	v_pk_fma_f32 v[128:129], v[130:131], s[12:13], v[128:129] op_sel_hi:[1,0,1]
	v_pk_fma_f32 v[130:131], v[130:131], s[12:13], v[68:69] op_sel_hi:[1,0,1]
	s_waitcnt lgkmcnt(3)
	v_pk_mul_f32 v[68:69], v[148:149], v[116:117] op_sel:[0,1]
	s_nop 0
	v_pk_fma_f32 v[138:139], v[148:149], v[116:117], v[68:69] op_sel:[0,0,1] op_sel_hi:[1,1,0] neg_lo:[0,0,1] neg_hi:[0,0,1]
	v_pk_fma_f32 v[68:69], v[148:149], v[116:117], v[68:69] op_sel:[0,0,1] op_sel_hi:[1,0,0]
	s_nop 0
	v_mov_b32_e32 v68, v119
	v_mov_b32_e32 v139, v69
	s_waitcnt lgkmcnt(2)
	v_pk_mul_f32 v[68:69], v[154:155], v[68:69] op_sel_hi:[1,0]
	s_nop 0
	v_pk_fma_f32 v[148:149], v[154:155], v[118:119], v[68:69] op_sel:[0,0,1] op_sel_hi:[1,1,0] neg_lo:[0,0,1] neg_hi:[0,0,1]
	v_pk_fma_f32 v[68:69], v[154:155], v[118:119], v[68:69] op_sel:[0,0,1] op_sel_hi:[1,0,0]
	s_nop 0
	v_mov_b32_e32 v149, v69
	s_waitcnt lgkmcnt(1)
	v_pk_mul_f32 v[68:69], v[162:163], v[108:109] op_sel:[0,1]
	v_pk_add_f32 v[184:185], v[148:149], v[138:139] neg_lo:[0,1] neg_hi:[0,1]
	v_pk_fma_f32 v[154:155], v[162:163], v[108:109], v[68:69] op_sel:[0,0,1] op_sel_hi:[1,1,0] neg_lo:[0,0,1] neg_hi:[0,0,1]
	v_pk_fma_f32 v[68:69], v[162:163], v[108:109], v[68:69] op_sel:[0,0,1] op_sel_hi:[1,0,0]
	s_nop 0
	v_mov_b32_e32 v68, v111
	v_mov_b32_e32 v155, v69
	s_waitcnt lgkmcnt(0)
	v_pk_mul_f32 v[68:69], v[176:177], v[68:69] op_sel_hi:[1,0]
	v_pk_add_f32 v[166:167], v[148:149], v[154:155] neg_lo:[0,1] neg_hi:[0,1]
	v_pk_fma_f32 v[158:159], v[176:177], v[110:111], v[68:69] op_sel:[0,0,1] op_sel_hi:[1,1,0] neg_lo:[0,0,1] neg_hi:[0,0,1]
	v_pk_fma_f32 v[68:69], v[176:177], v[110:111], v[68:69] op_sel:[0,0,1] op_sel_hi:[1,0,0]
	v_pk_add_f32 v[176:177], v[138:139], v[148:149] neg_lo:[0,1] neg_hi:[0,1]
	v_mov_b32_e32 v159, v69
	v_pk_add_f32 v[68:69], v[148:149], v[154:155]
	v_pk_add_f32 v[162:163], v[138:139], v[158:159] neg_lo:[0,1] neg_hi:[0,1]
	v_pk_fma_f32 v[68:69], v[68:69], 0.5, v[144:145] op_sel_hi:[1,0,1] neg_lo:[1,0,0] neg_hi:[1,0,0]
	v_pk_add_f32 v[180:181], v[158:159], v[154:155] neg_lo:[0,1] neg_hi:[0,1]
	v_pk_add_f32 v[186:187], v[154:155], v[158:159] neg_lo:[0,1] neg_hi:[0,1]
	v_pk_add_f32 v[176:177], v[176:177], v[180:181]
	v_pk_fma_f32 v[180:181], v[162:163], s[14:15], v[68:69] op_sel:[1,0,0] op_sel_hi:[0,0,1]
	v_pk_fma_f32 v[68:69], v[162:163], s[14:15], v[68:69] op_sel:[1,0,0] op_sel_hi:[0,0,1] neg_lo:[1,0,0] neg_hi:[1,0,0]
	v_pk_fma_f32 v[68:69], v[166:167], s[16:17], v[68:69] op_sel:[1,0,0] op_sel_hi:[0,0,1] neg_lo:[1,0,0] neg_hi:[1,0,0]
	v_pk_fma_f32 v[180:181], v[166:167], s[16:17], v[180:181] op_sel:[1,0,0] op_sel_hi:[0,0,1]
	v_mov_b32_e32 v182, v180
	v_mov_b32_e32 v183, v69
	v_pk_fma_f32 v[192:193], v[176:177], s[12:13], v[182:183] op_sel_hi:[1,0,1]
	v_pk_add_f32 v[182:183], v[138:139], v[158:159]
	v_pk_add_f32 v[184:185], v[184:185], v[186:187]
	v_pk_fma_f32 v[182:183], v[182:183], 0.5, v[144:145] op_sel_hi:[1,0,1] neg_lo:[1,0,0] neg_hi:[1,0,0]
	v_mov_b32_e32 v69, v181
	v_pk_fma_f32 v[186:187], v[166:167], s[14:15], v[182:183] op_sel:[1,0,0] op_sel_hi:[0,0,1] neg_lo:[1,0,0] neg_hi:[1,0,0]
	v_pk_fma_f32 v[166:167], v[166:167], s[14:15], v[182:183] op_sel:[1,0,0] op_sel_hi:[0,0,1]
	v_pk_fma_f32 v[166:167], v[162:163], s[16:17], v[166:167] op_sel:[1,0,0] op_sel_hi:[0,0,1] neg_lo:[1,0,0] neg_hi:[1,0,0]
	v_pk_fma_f32 v[162:163], v[162:163], s[16:17], v[186:187] op_sel:[1,0,0] op_sel_hi:[0,0,1]
	v_mov_b32_e32 v182, v162
	v_mov_b32_e32 v183, v167
	;; [unrolled: 1-line block ×3, first 2 shown]
	v_pk_fma_f32 v[194:195], v[184:185], s[12:13], v[182:183] op_sel_hi:[1,0,1]
	v_pk_fma_f32 v[162:163], v[184:185], s[12:13], v[166:167] op_sel_hi:[1,0,1]
	ds_read2_b64 v[180:183], v178 offset0:110 offset1:165
	ds_read2_b64 v[184:187], v171 offset0:148 offset1:203
	;; [unrolled: 1-line block ×3, first 2 shown]
	v_pk_mul_f32 v[166:167], v[150:151], v[104:105] op_sel:[0,1]
	v_pk_fma_f32 v[68:69], v[176:177], s[12:13], v[68:69] op_sel_hi:[1,0,1]
	v_pk_fma_f32 v[176:177], v[150:151], v[104:105], v[166:167] op_sel:[0,0,1] op_sel_hi:[1,1,0] neg_lo:[0,0,1] neg_hi:[0,0,1]
	v_pk_fma_f32 v[150:151], v[150:151], v[104:105], v[166:167] op_sel:[0,0,1] op_sel_hi:[1,0,0]
	s_nop 0
	v_mov_b32_e32 v150, v107
	v_mov_b32_e32 v177, v151
	s_waitcnt lgkmcnt(1)
	v_pk_mul_f32 v[150:151], v[184:185], v[150:151] op_sel_hi:[1,0]
	s_nop 0
	v_pk_fma_f32 v[166:167], v[184:185], v[106:107], v[150:151] op_sel:[0,0,1] op_sel_hi:[1,1,0] neg_lo:[0,0,1] neg_hi:[0,0,1]
	v_pk_fma_f32 v[150:151], v[184:185], v[106:107], v[150:151] op_sel:[0,0,1] op_sel_hi:[1,0,0]
	s_nop 0
	v_mov_b32_e32 v167, v151
	v_pk_mul_f32 v[150:151], v[164:165], v[96:97] op_sel:[0,1]
	s_nop 0
	v_pk_fma_f32 v[184:185], v[164:165], v[96:97], v[150:151] op_sel:[0,0,1] op_sel_hi:[1,1,0] neg_lo:[0,0,1] neg_hi:[0,0,1]
	v_pk_fma_f32 v[150:151], v[164:165], v[96:97], v[150:151] op_sel:[0,0,1] op_sel_hi:[1,0,0]
	s_nop 0
	v_mov_b32_e32 v150, v99
	v_mov_b32_e32 v185, v151
	s_waitcnt lgkmcnt(0)
	v_pk_mul_f32 v[150:151], v[188:189], v[150:151] op_sel_hi:[1,0]
	s_nop 0
	v_pk_fma_f32 v[164:165], v[188:189], v[98:99], v[150:151] op_sel:[0,0,1] op_sel_hi:[1,1,0] neg_lo:[0,0,1] neg_hi:[0,0,1]
	v_pk_fma_f32 v[150:151], v[188:189], v[98:99], v[150:151] op_sel:[0,0,1] op_sel_hi:[1,0,0]
	v_pk_mul_f32 v[188:189], v[134:135], v[124:125] op_sel:[0,1]
	v_mov_b32_e32 v165, v151
	v_pk_fma_f32 v[196:197], v[134:135], v[124:125], v[188:189] op_sel:[0,0,1] op_sel_hi:[1,1,0] neg_lo:[0,0,1] neg_hi:[0,0,1]
	v_pk_fma_f32 v[134:135], v[134:135], v[124:125], v[188:189] op_sel:[0,0,1] op_sel_hi:[1,0,0]
	v_pk_add_f32 v[150:151], v[180:181], v[176:177]
	v_mov_b32_e32 v134, v127
	v_mov_b32_e32 v197, v135
	v_pk_mul_f32 v[134:135], v[152:153], v[134:135] op_sel_hi:[1,0]
	v_pk_add_f32 v[150:151], v[150:151], v[166:167]
	v_pk_fma_f32 v[188:189], v[152:153], v[126:127], v[134:135] op_sel:[0,0,1] op_sel_hi:[1,1,0] neg_lo:[0,0,1] neg_hi:[0,0,1]
	v_pk_fma_f32 v[134:135], v[152:153], v[126:127], v[134:135] op_sel:[0,0,1] op_sel_hi:[1,0,0]
	v_pk_add_f32 v[150:151], v[150:151], v[184:185]
	v_mov_b32_e32 v189, v135
	v_pk_mul_f32 v[134:135], v[146:147], v[120:121] op_sel:[0,1]
	v_pk_add_f32 v[210:211], v[196:197], v[188:189] neg_lo:[0,1] neg_hi:[0,1]
	v_pk_fma_f32 v[152:153], v[146:147], v[120:121], v[134:135] op_sel:[0,0,1] op_sel_hi:[1,1,0] neg_lo:[0,0,1] neg_hi:[0,0,1]
	v_pk_fma_f32 v[134:135], v[146:147], v[120:121], v[134:135] op_sel:[0,0,1] op_sel_hi:[1,0,0]
	v_pk_add_f32 v[150:151], v[150:151], v[164:165]
	v_mov_b32_e32 v134, v123
	v_mov_b32_e32 v153, v135
	v_pk_mul_f32 v[134:135], v[174:175], v[134:135] op_sel_hi:[1,0]
	v_pk_add_f32 v[202:203], v[188:189], v[152:153] neg_lo:[0,1] neg_hi:[0,1]
	v_pk_fma_f32 v[146:147], v[174:175], v[122:123], v[134:135] op_sel:[0,0,1] op_sel_hi:[1,1,0] neg_lo:[0,0,1] neg_hi:[0,0,1]
	v_pk_fma_f32 v[134:135], v[174:175], v[122:123], v[134:135] op_sel:[0,0,1] op_sel_hi:[1,0,0]
	v_pk_add_f32 v[174:175], v[188:189], v[152:153]
	v_mov_b32_e32 v147, v135
	v_pk_add_f32 v[198:199], v[196:197], v[146:147] neg_lo:[0,1] neg_hi:[0,1]
	v_pk_fma_f32 v[174:175], v[174:175], 0.5, v[142:143] op_sel_hi:[1,0,1] neg_lo:[1,0,0] neg_hi:[1,0,0]
	v_pk_mul_f32 v[200:201], v[198:199], s[14:15] op_sel_hi:[1,0]
	v_pk_add_f32 v[212:213], v[146:147], v[152:153] neg_lo:[0,1] neg_hi:[0,1]
	v_pk_mul_f32 v[204:205], v[202:203], s[16:17] op_sel_hi:[1,0]
	v_pk_add_f32 v[210:211], v[210:211], v[212:213]
	v_pk_add_f32 v[212:213], v[174:175], v[200:201] op_sel:[0,1] op_sel_hi:[1,0]
	v_pk_add_f32 v[174:175], v[174:175], v[200:201] op_sel:[0,1] op_sel_hi:[1,0] neg_lo:[0,1] neg_hi:[0,1]
	v_pk_add_f32 v[200:201], v[212:213], v[204:205] op_sel:[0,1] op_sel_hi:[1,0]
	v_pk_add_f32 v[174:175], v[174:175], v[204:205] op_sel:[0,1] op_sel_hi:[1,0] neg_lo:[0,1] neg_hi:[0,1]
	v_pk_add_f32 v[134:135], v[142:143], v[196:197]
	v_mov_b32_e32 v204, v200
	v_mov_b32_e32 v205, v175
	v_pk_add_f32 v[134:135], v[134:135], v[188:189]
	v_pk_fma_f32 v[204:205], v[210:211], s[12:13], v[204:205] op_sel_hi:[1,0,1]
	v_pk_add_f32 v[134:135], v[134:135], v[152:153]
	ds_write2_b64 v168, v[204:205], v[192:193] offset0:19 offset1:74
	v_pk_add_f32 v[192:193], v[196:197], v[146:147]
	v_pk_add_f32 v[134:135], v[134:135], v[146:147]
	v_pk_fma_f32 v[142:143], v[192:193], 0.5, v[142:143] op_sel_hi:[1,0,1] neg_lo:[1,0,0] neg_hi:[1,0,0]
	v_pk_add_f32 v[188:189], v[188:189], v[196:197] neg_lo:[0,1] neg_hi:[0,1]
	v_pk_add_f32 v[146:147], v[152:153], v[146:147] neg_lo:[0,1] neg_hi:[0,1]
	v_pk_mul_f32 v[152:153], v[202:203], s[14:15] op_sel_hi:[1,0]
	v_pk_add_f32 v[146:147], v[188:189], v[146:147]
	v_pk_mul_f32 v[188:189], v[198:199], s[16:17] op_sel_hi:[1,0]
	v_pk_add_f32 v[192:193], v[142:143], v[152:153] op_sel:[0,1] op_sel_hi:[1,0] neg_lo:[0,1] neg_hi:[0,1]
	v_pk_add_f32 v[142:143], v[142:143], v[152:153] op_sel:[0,1] op_sel_hi:[1,0]
	v_pk_add_f32 v[152:153], v[192:193], v[188:189] op_sel:[0,1] op_sel_hi:[1,0]
	v_pk_add_f32 v[142:143], v[142:143], v[188:189] op_sel:[0,1] op_sel_hi:[1,0] neg_lo:[0,1] neg_hi:[0,1]
	v_mov_b32_e32 v175, v201
	v_mov_b32_e32 v189, v143
	;; [unrolled: 1-line block ×3, first 2 shown]
	v_pk_fma_f32 v[142:143], v[146:147], s[12:13], v[142:143] op_sel_hi:[1,0,1]
	ds_write2_b64 v169, v[142:143], v[162:163] offset0:57 offset1:112
	v_pk_fma_f32 v[142:143], v[210:211], s[12:13], v[174:175] op_sel_hi:[1,0,1]
	ds_write2_b64 v172, v[142:143], v[68:69] offset0:76 offset1:131
	v_pk_add_f32 v[68:69], v[144:145], v[138:139]
	v_mov_b32_e32 v188, v152
	v_pk_add_f32 v[68:69], v[68:69], v[148:149]
	v_pk_fma_f32 v[188:189], v[146:147], s[12:13], v[188:189] op_sel_hi:[1,0,1]
	v_pk_add_f32 v[68:69], v[68:69], v[154:155]
	ds_write2_b64 v171, v[188:189], v[194:195] offset0:38 offset1:93
	v_pk_add_f32 v[68:69], v[68:69], v[158:159]
	ds_write2_b64 v178, v[134:135], v[68:69] offset1:55
	v_pk_add_f32 v[68:69], v[166:167], v[184:185]
	v_pk_add_f32 v[134:135], v[176:177], v[164:165] neg_lo:[0,1] neg_hi:[0,1]
	v_pk_fma_f32 v[68:69], v[68:69], 0.5, v[180:181] op_sel_hi:[1,0,1] neg_lo:[1,0,0] neg_hi:[1,0,0]
	v_pk_mul_f32 v[138:139], v[134:135], s[14:15] op_sel_hi:[1,0]
	v_pk_add_f32 v[142:143], v[166:167], v[184:185] neg_lo:[0,1] neg_hi:[0,1]
	v_pk_add_f32 v[146:147], v[176:177], v[166:167] neg_lo:[0,1] neg_hi:[0,1]
	;; [unrolled: 1-line block ×3, first 2 shown]
	v_pk_mul_f32 v[144:145], v[142:143], s[16:17] op_sel_hi:[1,0]
	v_pk_add_f32 v[146:147], v[146:147], v[148:149]
	v_pk_add_f32 v[148:149], v[68:69], v[138:139] op_sel:[0,1] op_sel_hi:[1,0]
	v_pk_add_f32 v[68:69], v[68:69], v[138:139] op_sel:[0,1] op_sel_hi:[1,0] neg_lo:[0,1] neg_hi:[0,1]
	v_pk_add_f32 v[138:139], v[148:149], v[144:145] op_sel:[0,1] op_sel_hi:[1,0]
	v_pk_add_f32 v[148:149], v[176:177], v[164:165]
	v_pk_add_f32 v[152:153], v[166:167], v[176:177] neg_lo:[0,1] neg_hi:[0,1]
	v_pk_fma_f32 v[148:149], v[148:149], 0.5, v[180:181] op_sel_hi:[1,0,1] neg_lo:[1,0,0] neg_hi:[1,0,0]
	v_pk_add_f32 v[154:155], v[184:185], v[164:165] neg_lo:[0,1] neg_hi:[0,1]
	v_pk_mul_f32 v[142:143], v[142:143], s[14:15] op_sel_hi:[1,0]
	v_pk_add_f32 v[152:153], v[152:153], v[154:155]
	v_pk_mul_f32 v[134:135], v[134:135], s[16:17] op_sel_hi:[1,0]
	v_pk_add_f32 v[154:155], v[148:149], v[142:143] op_sel:[0,1] op_sel_hi:[1,0] neg_lo:[0,1] neg_hi:[0,1]
	v_pk_add_f32 v[142:143], v[148:149], v[142:143] op_sel:[0,1] op_sel_hi:[1,0]
	v_pk_add_f32 v[68:69], v[68:69], v[144:145] op_sel:[0,1] op_sel_hi:[1,0] neg_lo:[0,1] neg_hi:[0,1]
	v_pk_add_f32 v[142:143], v[142:143], v[134:135] op_sel:[0,1] op_sel_hi:[1,0] neg_lo:[0,1] neg_hi:[0,1]
	v_pk_add_f32 v[134:135], v[154:155], v[134:135] op_sel:[0,1] op_sel_hi:[1,0]
	v_mov_b32_e32 v144, v138
	v_mov_b32_e32 v145, v69
	;; [unrolled: 1-line block ×5, first 2 shown]
	v_pk_mul_f32 v[138:139], v[140:141], v[92:93] op_sel:[0,1]
	v_mov_b32_e32 v148, v134
	v_pk_fma_f32 v[134:135], v[152:153], s[12:13], v[142:143] op_sel_hi:[1,0,1]
	v_pk_fma_f32 v[142:143], v[140:141], v[92:93], v[138:139] op_sel:[0,0,1] op_sel_hi:[1,1,0] neg_lo:[0,0,1] neg_hi:[0,0,1]
	v_pk_fma_f32 v[138:139], v[140:141], v[92:93], v[138:139] op_sel:[0,0,1] op_sel_hi:[1,0,0]
	v_pk_fma_f32 v[144:145], v[146:147], s[12:13], v[144:145] op_sel_hi:[1,0,1]
	v_mov_b32_e32 v138, v95
	v_mov_b32_e32 v143, v139
	v_pk_mul_f32 v[138:139], v[186:187], v[138:139] op_sel_hi:[1,0]
	v_pk_fma_f32 v[68:69], v[146:147], s[12:13], v[68:69] op_sel_hi:[1,0,1]
	v_pk_fma_f32 v[140:141], v[186:187], v[94:95], v[138:139] op_sel:[0,0,1] op_sel_hi:[1,1,0] neg_lo:[0,0,1] neg_hi:[0,0,1]
	v_pk_fma_f32 v[138:139], v[186:187], v[94:95], v[138:139] op_sel:[0,0,1] op_sel_hi:[1,0,0]
	v_pk_fma_f32 v[148:149], v[152:153], s[12:13], v[148:149] op_sel_hi:[1,0,1]
	v_mov_b32_e32 v141, v139
	v_pk_mul_f32 v[138:139], v[136:137], v[84:85] op_sel:[0,1]
	v_pk_add_f32 v[162:163], v[142:143], v[140:141] neg_lo:[0,1] neg_hi:[0,1]
	v_pk_fma_f32 v[146:147], v[136:137], v[84:85], v[138:139] op_sel:[0,0,1] op_sel_hi:[1,1,0] neg_lo:[0,0,1] neg_hi:[0,0,1]
	v_pk_fma_f32 v[136:137], v[136:137], v[84:85], v[138:139] op_sel:[0,0,1] op_sel_hi:[1,0,0]
	s_nop 0
	v_mov_b32_e32 v136, v87
	v_mov_b32_e32 v147, v137
	v_pk_mul_f32 v[136:137], v[190:191], v[136:137] op_sel_hi:[1,0]
	v_pk_add_f32 v[154:155], v[140:141], v[146:147] neg_lo:[0,1] neg_hi:[0,1]
	v_pk_fma_f32 v[138:139], v[190:191], v[86:87], v[136:137] op_sel:[0,0,1] op_sel_hi:[1,1,0] neg_lo:[0,0,1] neg_hi:[0,0,1]
	v_pk_fma_f32 v[136:137], v[190:191], v[86:87], v[136:137] op_sel:[0,0,1] op_sel_hi:[1,0,0]
	v_pk_mul_f32 v[158:159], v[154:155], s[16:17] op_sel_hi:[1,0]
	v_mov_b32_e32 v139, v137
	v_pk_add_f32 v[136:137], v[182:183], v[142:143]
	v_pk_add_f32 v[164:165], v[138:139], v[146:147] neg_lo:[0,1] neg_hi:[0,1]
	v_pk_add_f32 v[136:137], v[136:137], v[140:141]
	v_pk_add_f32 v[162:163], v[162:163], v[164:165]
	;; [unrolled: 1-line block ×3, first 2 shown]
	s_nop 0
	v_pk_add_f32 v[136:137], v[136:137], v[138:139]
	ds_write2_b64 v178, v[150:151], v[136:137] offset0:110 offset1:165
	v_pk_add_f32 v[136:137], v[140:141], v[146:147]
	v_pk_add_f32 v[150:151], v[142:143], v[138:139] neg_lo:[0,1] neg_hi:[0,1]
	v_pk_fma_f32 v[136:137], v[136:137], 0.5, v[182:183] op_sel_hi:[1,0,1] neg_lo:[1,0,0] neg_hi:[1,0,0]
	v_pk_mul_f32 v[152:153], v[150:151], s[14:15] op_sel_hi:[1,0]
	v_pk_add_f32 v[140:141], v[140:141], v[142:143] neg_lo:[0,1] neg_hi:[0,1]
	v_pk_add_f32 v[164:165], v[136:137], v[152:153] op_sel:[0,1] op_sel_hi:[1,0]
	v_pk_add_f32 v[136:137], v[136:137], v[152:153] op_sel:[0,1] op_sel_hi:[1,0] neg_lo:[0,1] neg_hi:[0,1]
	v_pk_add_f32 v[152:153], v[164:165], v[158:159] op_sel:[0,1] op_sel_hi:[1,0]
	v_pk_add_f32 v[136:137], v[136:137], v[158:159] op_sel:[0,1] op_sel_hi:[1,0] neg_lo:[0,1] neg_hi:[0,1]
	v_mov_b32_e32 v158, v152
	v_mov_b32_e32 v159, v137
	v_pk_fma_f32 v[158:159], v[162:163], s[12:13], v[158:159] op_sel_hi:[1,0,1]
	ds_write2_b64 v168, v[144:145], v[158:159] offset0:129 offset1:184
	v_pk_add_f32 v[144:145], v[142:143], v[138:139]
	v_pk_add_f32 v[138:139], v[146:147], v[138:139] neg_lo:[0,1] neg_hi:[0,1]
	v_pk_fma_f32 v[144:145], v[144:145], 0.5, v[182:183] op_sel_hi:[1,0,1] neg_lo:[1,0,0] neg_hi:[1,0,0]
	v_pk_add_f32 v[138:139], v[140:141], v[138:139]
	v_pk_mul_f32 v[140:141], v[154:155], s[14:15] op_sel_hi:[1,0]
	v_pk_mul_f32 v[142:143], v[150:151], s[16:17] op_sel_hi:[1,0]
	v_pk_add_f32 v[146:147], v[144:145], v[140:141] op_sel:[0,1] op_sel_hi:[1,0] neg_lo:[0,1] neg_hi:[0,1]
	v_pk_add_f32 v[140:141], v[144:145], v[140:141] op_sel:[0,1] op_sel_hi:[1,0]
	v_mov_b32_e32 v137, v153
	v_pk_add_f32 v[140:141], v[140:141], v[142:143] op_sel:[0,1] op_sel_hi:[1,0] neg_lo:[0,1] neg_hi:[0,1]
	v_pk_add_f32 v[142:143], v[146:147], v[142:143] op_sel:[0,1] op_sel_hi:[1,0]
	v_mov_b32_e32 v145, v141
	v_mov_b32_e32 v144, v142
	;; [unrolled: 1-line block ×3, first 2 shown]
	v_pk_fma_f32 v[144:145], v[138:139], s[12:13], v[144:145] op_sel_hi:[1,0,1]
	v_pk_fma_f32 v[138:139], v[138:139], s[12:13], v[140:141] op_sel_hi:[1,0,1]
	ds_write2_b64 v169, v[134:135], v[138:139] offset0:167 offset1:222
	v_pk_fma_f32 v[134:135], v[162:163], s[12:13], v[136:137] op_sel_hi:[1,0,1]
	ds_write2_b64 v172, v[68:69], v[134:135] offset0:186 offset1:241
	v_pk_add_f32 v[68:69], v[132:133], v[0:1]
	v_pk_add_f32 v[0:1], v[0:1], v[2:3] neg_lo:[0,1] neg_hi:[0,1]
	v_pk_add_f32 v[68:69], v[68:69], v[2:3]
	ds_write2_b64 v171, v[148:149], v[144:145] offset0:148 offset1:203
	v_pk_add_f32 v[68:69], v[68:69], v[4:5]
	v_lshl_add_u64 v[158:159], s[8:9], 0, v[156:157]
	v_pk_add_f32 v[68:69], v[68:69], v[6:7]
	ds_write_b64 v178, v[68:69] offset:1760
	v_pk_add_f32 v[68:69], v[2:3], v[4:5]
	v_pk_add_f32 v[2:3], v[6:7], v[4:5] neg_lo:[0,1] neg_hi:[0,1]
	v_pk_fma_f32 v[68:69], v[68:69], 0.5, v[132:133] op_sel_hi:[1,0,1] neg_lo:[1,0,0] neg_hi:[1,0,0]
	v_pk_add_f32 v[0:1], v[0:1], v[2:3]
	v_pk_fma_f32 v[132:133], v[8:9], s[14:15], v[68:69] op_sel:[1,0,0] op_sel_hi:[0,0,1] neg_lo:[1,0,0] neg_hi:[1,0,0]
	v_pk_fma_f32 v[8:9], v[8:9], s[14:15], v[68:69] op_sel:[1,0,0] op_sel_hi:[0,0,1]
	v_pk_fma_f32 v[132:133], v[10:11], s[16:17], v[132:133] op_sel:[1,0,0] op_sel_hi:[0,0,1] neg_lo:[1,0,0] neg_hi:[1,0,0]
	v_pk_fma_f32 v[8:9], v[10:11], s[16:17], v[8:9] op_sel:[1,0,0] op_sel_hi:[0,0,1]
	v_mov_b32_e32 v10, v8
	v_mov_b32_e32 v11, v133
	;; [unrolled: 1-line block ×3, first 2 shown]
	v_pk_fma_f32 v[2:3], v[0:1], s[12:13], v[10:11] op_sel_hi:[1,0,1]
	v_pk_fma_f32 v[68:69], v[0:1], s[12:13], v[132:133] op_sel_hi:[1,0,1]
	ds_write_b64 v178, v[2:3] offset:3960
	ds_write_b64 v178, v[128:129] offset:6160
	ds_write_b64 v178, v[130:131] offset:8360
	ds_write_b64 v178, v[68:69] offset:10560
	s_waitcnt lgkmcnt(0)
	; wave barrier
	s_waitcnt lgkmcnt(0)
	global_load_dwordx2 v[0:1], v156, s[8:9]
	global_load_dwordx2 v[6:7], v156, s[8:9] offset:3000
	ds_read2_b64 v[136:139], v178 offset1:55
	global_load_dwordx2 v[10:11], v156, s[8:9] offset:4000
	v_add_u32_e32 v8, 0xc00, v178
	v_accvgpr_write_b32 a66, v68
	v_accvgpr_write_b32 a67, v69
	;; [unrolled: 1-line block ×4, first 2 shown]
	s_waitcnt vmcnt(2) lgkmcnt(0)
	v_mul_f32_e32 v2, v137, v1
	v_mul_f32_e32 v3, v136, v1
	v_fma_f32 v2, v136, v0, -v2
	v_fmac_f32_e32 v3, v137, v0
	ds_write_b64 v178, v[2:3]
	global_load_dwordx2 v[2:3], v156, s[8:9] offset:1000
	ds_read2_b64 v[140:143], v178 offset0:125 offset1:180
	ds_read2_b64 v[134:137], v160 offset0:122 offset1:177
	;; [unrolled: 1-line block ×8, first 2 shown]
	s_waitcnt vmcnt(0) lgkmcnt(7)
	v_mul_f32_e32 v0, v141, v3
	v_mul_f32_e32 v1, v140, v3
	v_fma_f32 v0, v140, v2, -v0
	v_fmac_f32_e32 v1, v141, v2
	global_load_dwordx2 v[2:3], v156, s[8:9] offset:2000
	v_add_co_u32_e64 v140, s[0:1], s15, v158
	s_waitcnt vmcnt(0) lgkmcnt(6)
	v_mul_f32_e32 v4, v135, v3
	v_mul_f32_e32 v5, v134, v3
	v_fma_f32 v4, v134, v2, -v4
	v_fmac_f32_e32 v5, v135, v2
	s_waitcnt lgkmcnt(5)
	v_mul_f32_e32 v2, v145, v7
	v_mul_f32_e32 v3, v144, v7
	v_fma_f32 v2, v144, v6, -v2
	v_fmac_f32_e32 v3, v145, v6
	s_waitcnt lgkmcnt(4)
	v_mul_f32_e32 v6, v149, v11
	v_mul_f32_e32 v7, v148, v11
	v_addc_co_u32_e64 v141, s[0:1], 0, v159, s[0:1]
	v_fma_f32 v6, v148, v10, -v6
	v_fmac_f32_e32 v7, v149, v10
	global_load_dwordx2 v[10:11], v[140:141], off offset:904
	v_add_co_u32_e64 v144, s[0:1], s13, v158
	s_waitcnt vmcnt(0) lgkmcnt(3)
	v_mul_f32_e32 v9, v153, v11
	v_mul_f32_e32 v149, v152, v11
	v_fma_f32 v148, v152, v10, -v9
	v_fmac_f32_e32 v149, v153, v10
	global_load_dwordx2 v[10:11], v[140:141], off offset:1904
	v_add_u32_e32 v9, 0x1400, v178
	ds_read2_b64 v[162:165], v9 offset0:110 offset1:165
	v_addc_co_u32_e64 v145, s[0:1], 0, v159, s[0:1]
	s_waitcnt vmcnt(0) lgkmcnt(0)
	v_mul_f32_e32 v12, v163, v11
	v_mul_f32_e32 v153, v162, v11
	v_fma_f32 v152, v162, v10, -v12
	v_fmac_f32_e32 v153, v163, v10
	global_load_dwordx2 v[10:11], v[140:141], off offset:2904
	s_waitcnt vmcnt(0)
	v_mul_f32_e32 v12, v175, v11
	v_mul_f32_e32 v163, v174, v11
	v_fma_f32 v162, v174, v10, -v12
	v_fmac_f32_e32 v163, v175, v10
	global_load_dwordx2 v[10:11], v[140:141], off offset:3904
	s_waitcnt vmcnt(0)
	v_mul_f32_e32 v12, v181, v11
	v_mul_f32_e32 v167, v180, v11
	v_fma_f32 v166, v180, v10, -v12
	v_fmac_f32_e32 v167, v181, v10
	global_load_dwordx2 v[10:11], v[144:145], off offset:808
	global_load_dwordx2 v[180:181], v[144:145], off offset:1808
	s_waitcnt vmcnt(1)
	v_mul_f32_e32 v12, v185, v11
	v_mul_f32_e32 v175, v184, v11
	v_fma_f32 v174, v184, v10, -v12
	v_fmac_f32_e32 v175, v185, v10
	v_add_u32_e32 v10, 0x2400, v178
	ds_read2_b64 v[132:135], v10 offset0:98 offset1:153
	s_waitcnt vmcnt(0) lgkmcnt(0)
	v_mul_f32_e32 v11, v133, v181
	v_mul_f32_e32 v185, v132, v181
	v_fma_f32 v184, v132, v180, -v11
	v_fmac_f32_e32 v185, v133, v180
	global_load_dwordx2 v[132:133], v156, s[8:9] offset:440
	s_waitcnt vmcnt(0)
	v_mul_f32_e32 v11, v139, v133
	v_mul_f32_e32 v181, v138, v133
	v_fma_f32 v180, v138, v132, -v11
	v_fmac_f32_e32 v181, v139, v132
	ds_write2_b64 v178, v[180:181], v[0:1] offset0:55 offset1:125
	global_load_dwordx2 v[0:1], v156, s[8:9] offset:1440
	s_waitcnt vmcnt(0)
	v_mul_f32_e32 v11, v143, v1
	v_mul_f32_e32 v133, v142, v1
	v_fma_f32 v132, v142, v0, -v11
	v_fmac_f32_e32 v133, v143, v0
	global_load_dwordx2 v[0:1], v156, s[8:9] offset:2440
	ds_write2_b64 v178, v[132:133], v[4:5] offset0:180 offset1:250
	s_waitcnt vmcnt(0)
	v_mul_f32_e32 v4, v137, v1
	v_mul_f32_e32 v5, v136, v1
	v_fma_f32 v4, v136, v0, -v4
	v_fmac_f32_e32 v5, v137, v0
	global_load_dwordx2 v[0:1], v156, s[8:9] offset:3440
	ds_write2_b64 v168, v[4:5], v[2:3] offset0:49 offset1:119
	s_waitcnt vmcnt(0)
	v_mul_f32_e32 v2, v147, v1
	v_mul_f32_e32 v3, v146, v1
	v_fma_f32 v2, v146, v0, -v2
	v_fmac_f32_e32 v3, v147, v0
	global_load_dwordx2 v[0:1], v[140:141], off offset:344
	ds_write2_b64 v168, v[2:3], v[6:7] offset0:174 offset1:244
	s_waitcnt vmcnt(0)
	v_mul_f32_e32 v2, v151, v1
	v_mul_f32_e32 v3, v150, v1
	v_fma_f32 v2, v150, v0, -v2
	v_fmac_f32_e32 v3, v151, v0
	global_load_dwordx2 v[0:1], v[140:141], off offset:1344
	;; [unrolled: 7-line block ×7, first 2 shown]
	ds_write2_b64 v172, v[2:3], v[184:185] offset0:156 offset1:226
	s_waitcnt vmcnt(0)
	v_mul_f32_e32 v2, v135, v1
	v_mul_f32_e32 v3, v134, v1
	v_fma_f32 v2, v134, v0, -v2
	v_fmac_f32_e32 v3, v135, v0
	ds_write_b64 v178, v[2:3] offset:10440
	s_and_saveexec_b64 s[0:1], vcc
	s_cbranch_execz .LBB0_9
; %bb.8:
	v_accvgpr_read_b32 v3, a120             ;  Reload Reuse
	v_mov_b32_e32 v0, 0x2a80
	v_accvgpr_read_b32 v2, a122             ;  Reload Reuse
	global_load_dwordx2 v[4:5], v[158:159], off offset:880
	global_load_dwordx2 v[6:7], v[158:159], off offset:1880
	global_load_dwordx2 v[142:143], v[158:159], off offset:2880
	global_load_dwordx2 v[146:147], v[158:159], off offset:3880
	global_load_dwordx2 v[148:149], v[140:141], off offset:784
	global_load_dwordx2 v[150:151], v[140:141], off offset:1784
	global_load_dwordx2 v[152:153], v[140:141], off offset:2784
	s_nop 0
	global_load_dwordx2 v[140:141], v[140:141], off offset:3784
	s_nop 0
	global_load_dwordx2 v[154:155], v[144:145], off offset:688
	v_lshl_or_b32 v0, v2, 3, v0
	global_load_dwordx2 v[144:145], v[144:145], off offset:1688
	v_mov_b64_e32 v[70:71], v[34:35]
	global_load_dwordx2 v[156:157], v0, s[8:9]
	ds_read2_b64 v[0:3], v178 offset0:110 offset1:235
	v_mov_b64_e32 v[68:69], v[32:33]
	v_mov_b64_e32 v[34:35], v[18:19]
	;; [unrolled: 1-line block ×3, first 2 shown]
	s_waitcnt vmcnt(10) lgkmcnt(0)
	v_mul_f32_e32 v11, v1, v5
	v_mul_f32_e32 v133, v0, v5
	s_waitcnt vmcnt(9)
	v_mul_f32_e32 v12, v3, v7
	v_mul_f32_e32 v5, v2, v7
	v_fma_f32 v132, v0, v4, -v11
	v_fmac_f32_e32 v133, v1, v4
	v_fma_f32 v4, v2, v6, -v12
	v_fmac_f32_e32 v5, v3, v6
	ds_write2_b64 v178, v[132:133], v[4:5] offset0:110 offset1:235
	ds_read2_b64 v[0:3], v168 offset0:104 offset1:229
	ds_read2_b64 v[4:7], v171 offset0:98 offset1:223
	;; [unrolled: 1-line block ×4, first 2 shown]
	ds_read_b64 v[158:159], v178 offset:10880
	s_waitcnt vmcnt(8) lgkmcnt(4)
	v_mul_f32_e32 v11, v1, v143
	v_mul_f32_e32 v163, v0, v143
	s_waitcnt vmcnt(7)
	v_mul_f32_e32 v12, v3, v147
	v_mul_f32_e32 v143, v2, v147
	s_waitcnt vmcnt(6) lgkmcnt(3)
	v_mul_f32_e32 v13, v5, v149
	v_mul_f32_e32 v147, v4, v149
	s_waitcnt vmcnt(5)
	v_mul_f32_e32 v14, v7, v151
	v_mul_f32_e32 v149, v6, v151
	;; [unrolled: 6-line block ×4, first 2 shown]
	s_waitcnt vmcnt(0) lgkmcnt(0)
	v_mul_f32_e32 v19, v159, v157
	v_fma_f32 v162, v0, v142, -v11
	v_fmac_f32_e32 v163, v1, v142
	v_fma_f32 v142, v2, v146, -v12
	v_fmac_f32_e32 v143, v3, v146
	;; [unrolled: 2-line block ×8, first 2 shown]
	v_fma_f32 v144, v158, v156, -v19
	v_mov_b64_e32 v[16:17], v[32:33]
	v_mov_b64_e32 v[18:19], v[34:35]
	;; [unrolled: 1-line block ×3, first 2 shown]
	v_mul_f32_e32 v145, v158, v157
	v_mov_b64_e32 v[34:35], v[70:71]
	v_fmac_f32_e32 v145, v159, v156
	ds_write2_b64 v168, v[162:163], v[142:143] offset0:104 offset1:229
	ds_write2_b64 v171, v[146:147], v[148:149] offset0:98 offset1:223
	;; [unrolled: 1-line block ×4, first 2 shown]
	ds_write_b64 v178, v[144:145] offset:10880
.LBB0_9:
	s_or_b64 exec, exec, s[0:1]
	s_waitcnt lgkmcnt(0)
	; wave barrier
	s_waitcnt lgkmcnt(0)
	ds_read2_b64 v[132:135], v178 offset1:55
	ds_read2_b64 v[164:167], v178 offset0:125 offset1:180
	ds_read2_b64 v[160:163], v160 offset0:122 offset1:177
	;; [unrolled: 1-line block ×10, first 2 shown]
	s_and_saveexec_b64 s[0:1], vcc
	s_cbranch_execz .LBB0_11
; %bb.10:
	v_add_u32_e32 v0, 0x800, v178
	ds_read2_b64 a[66:69], v0 offset0:104 offset1:229
	v_add_u32_e32 v0, 0x1000, v178
	ds_read2_b64 a[52:55], v0 offset0:98 offset1:223
	;; [unrolled: 2-line block ×4, first 2 shown]
	ds_read2_b64 a[48:51], v0 offset0:86 offset1:211
	ds_read_b64 a[82:83], v178 offset:10880
.LBB0_11:
	s_or_b64 exec, exec, s[0:1]
	s_waitcnt lgkmcnt(9)
	v_pk_add_f32 v[0:1], v[132:133], v[164:165]
	s_waitcnt lgkmcnt(0)
	v_pk_add_f32 v[186:187], v[164:165], v[172:173] neg_lo:[0,1] neg_hi:[0,1]
	v_pk_add_f32 v[0:1], v[0:1], v[160:161]
	s_mov_b32 s16, 0xbf0a6770
	v_pk_add_f32 v[0:1], v[0:1], v[152:153]
	v_pk_add_f32 v[182:183], v[172:173], v[164:165]
	;; [unrolled: 1-line block ×3, first 2 shown]
	s_mov_b32 s0, 0x3f575c64
	v_pk_add_f32 v[0:1], v[0:1], v[136:137]
	v_pk_mul_f32 v[2:3], v[186:187], s[16:17] op_sel_hi:[1,0]
	v_pk_add_f32 v[0:1], v[0:1], v[140:141]
	v_pk_add_f32 v[190:191], v[160:161], v[168:169] neg_lo:[0,1] neg_hi:[0,1]
	v_pk_add_f32 v[0:1], v[0:1], v[148:149]
	s_mov_b32 s34, 0xbf68dda4
	v_pk_add_f32 v[0:1], v[0:1], v[156:157]
	v_pk_add_f32 v[188:189], v[168:169], v[160:161]
	v_pk_add_f32 v[0:1], v[0:1], v[168:169]
	s_mov_b32 s8, 0x3ed4b147
	v_pk_add_f32 v[176:177], v[0:1], v[172:173]
	v_pk_fma_f32 v[0:1], v[182:183], s[0:1], v[2:3] op_sel:[0,0,1] op_sel_hi:[1,0,0]
	v_pk_fma_f32 v[2:3], v[182:183], s[0:1], v[2:3] op_sel:[0,0,1] op_sel_hi:[1,0,0] neg_lo:[0,0,1] neg_hi:[0,0,1]
	v_mov_b32_e32 v4, v0
	v_mov_b32_e32 v5, v3
	v_pk_mul_f32 v[6:7], v[190:191], s[34:35] op_sel_hi:[1,0]
	v_pk_add_f32 v[8:9], v[132:133], v[4:5]
	v_pk_fma_f32 v[4:5], v[188:189], s[8:9], v[6:7] op_sel:[0,0,1] op_sel_hi:[1,0,0]
	v_pk_fma_f32 v[6:7], v[188:189], s[8:9], v[6:7] op_sel:[0,0,1] op_sel_hi:[1,0,0] neg_lo:[0,0,1] neg_hi:[0,0,1]
	v_mov_b32_e32 v10, v4
	v_mov_b32_e32 v11, v7
	v_pk_add_f32 v[194:195], v[152:153], v[156:157] neg_lo:[0,1] neg_hi:[0,1]
	s_mov_b32 s14, 0xbf7d64f0
	v_pk_add_f32 v[160:161], v[10:11], v[8:9]
	v_pk_add_f32 v[192:193], v[156:157], v[152:153]
	s_mov_b32 s12, 0xbe11bafb
	v_pk_mul_f32 v[10:11], v[194:195], s[14:15] op_sel_hi:[1,0]
	v_pk_add_f32 v[198:199], v[144:145], v[148:149] neg_lo:[0,1] neg_hi:[0,1]
	s_mov_b32 s20, 0xbf4178ce
	v_pk_fma_f32 v[8:9], v[192:193], s[12:13], v[10:11] op_sel:[0,0,1] op_sel_hi:[1,0,0]
	v_pk_fma_f32 v[10:11], v[192:193], s[12:13], v[10:11] op_sel:[0,0,1] op_sel_hi:[1,0,0] neg_lo:[0,0,1] neg_hi:[0,0,1]
	v_pk_add_f32 v[196:197], v[148:149], v[144:145]
	s_mov_b32 s18, 0xbf27a4f4
	v_pk_mul_f32 v[148:149], v[198:199], s[20:21] op_sel_hi:[1,0]
	v_pk_add_f32 v[202:203], v[136:137], v[140:141] neg_lo:[0,1] neg_hi:[0,1]
	s_mov_b32 s24, 0xbe903f40
	v_mov_b32_e32 v152, v8
	v_mov_b32_e32 v153, v11
	v_pk_fma_f32 v[144:145], v[196:197], s[18:19], v[148:149] op_sel:[0,0,1] op_sel_hi:[1,0,0]
	v_pk_fma_f32 v[148:149], v[196:197], s[18:19], v[148:149] op_sel:[0,0,1] op_sel_hi:[1,0,0] neg_lo:[0,0,1] neg_hi:[0,0,1]
	v_pk_add_f32 v[200:201], v[140:141], v[136:137]
	s_mov_b32 s22, 0xbf75a155
	v_pk_mul_f32 v[140:141], v[202:203], s[24:25] op_sel_hi:[1,0]
	v_pk_add_f32 v[152:153], v[152:153], v[160:161]
	v_mov_b32_e32 v156, v144
	v_mov_b32_e32 v157, v149
	v_pk_fma_f32 v[136:137], v[200:201], s[22:23], v[140:141] op_sel:[0,0,1] op_sel_hi:[1,0,0]
	v_pk_fma_f32 v[140:141], v[200:201], s[22:23], v[140:141] op_sel:[0,0,1] op_sel_hi:[1,0,0] neg_lo:[0,0,1] neg_hi:[0,0,1]
	v_pk_add_f32 v[152:153], v[156:157], v[152:153]
	v_mov_b32_e32 v156, v136
	v_mov_b32_e32 v157, v141
	v_pk_add_f32 v[152:153], v[156:157], v[152:153]
	v_pk_mul_f32 v[156:157], v[186:187], s[34:35] op_sel_hi:[1,0]
	s_waitcnt lgkmcnt(0)
	; wave barrier
	ds_write2_b64 v206, v[176:177], v[152:153] offset1:1
	v_pk_fma_f32 v[152:153], v[182:183], s[8:9], v[156:157] op_sel:[0,0,1] op_sel_hi:[1,0,0]
	v_pk_fma_f32 v[156:157], v[182:183], s[8:9], v[156:157] op_sel:[0,0,1] op_sel_hi:[1,0,0] neg_lo:[0,0,1] neg_hi:[0,0,1]
	v_mov_b32_e32 v160, v152
	v_mov_b32_e32 v161, v157
	v_pk_mul_f32 v[164:165], v[190:191], s[20:21] op_sel_hi:[1,0]
	v_pk_add_f32 v[168:169], v[132:133], v[160:161]
	v_pk_fma_f32 v[160:161], v[188:189], s[18:19], v[164:165] op_sel:[0,0,1] op_sel_hi:[1,0,0]
	v_pk_fma_f32 v[164:165], v[188:189], s[18:19], v[164:165] op_sel:[0,0,1] op_sel_hi:[1,0,0] neg_lo:[0,0,1] neg_hi:[0,0,1]
	v_mov_b32_e32 v172, v160
	v_mov_b32_e32 v173, v165
	s_mov_b32 s36, 0x3e903f40
	v_pk_add_f32 v[176:177], v[172:173], v[168:169]
	v_pk_mul_f32 v[172:173], v[194:195], s[36:37] op_sel_hi:[1,0]
	s_mov_b32 s30, 0x3f7d64f0
	v_pk_fma_f32 v[168:169], v[192:193], s[22:23], v[172:173] op_sel:[0,0,1] op_sel_hi:[1,0,0]
	v_pk_fma_f32 v[172:173], v[192:193], s[22:23], v[172:173] op_sel:[0,0,1] op_sel_hi:[1,0,0] neg_lo:[0,0,1] neg_hi:[0,0,1]
	v_mov_b32_e32 v180, v168
	v_mov_b32_e32 v181, v173
	v_pk_add_f32 v[184:185], v[180:181], v[176:177]
	v_pk_mul_f32 v[180:181], v[198:199], s[30:31] op_sel_hi:[1,0]
	s_mov_b32 s26, 0x3f0a6770
	v_pk_fma_f32 v[176:177], v[196:197], s[12:13], v[180:181] op_sel:[0,0,1] op_sel_hi:[1,0,0]
	v_pk_fma_f32 v[180:181], v[196:197], s[12:13], v[180:181] op_sel:[0,0,1] op_sel_hi:[1,0,0] neg_lo:[0,0,1] neg_hi:[0,0,1]
	v_mov_b32_e32 v204, v176
	v_mov_b32_e32 v205, v181
	v_pk_add_f32 v[210:211], v[204:205], v[184:185]
	v_pk_mul_f32 v[204:205], v[202:203], s[26:27] op_sel_hi:[1,0]
	v_pk_mul_f32 v[218:219], v[190:191], s[36:37] op_sel_hi:[1,0]
	v_pk_fma_f32 v[184:185], v[200:201], s[0:1], v[204:205] op_sel:[0,0,1] op_sel_hi:[1,0,0]
	v_pk_fma_f32 v[204:205], v[200:201], s[0:1], v[204:205] op_sel:[0,0,1] op_sel_hi:[1,0,0] neg_lo:[0,0,1] neg_hi:[0,0,1]
	v_mov_b32_e32 v212, v184
	v_mov_b32_e32 v213, v205
	v_pk_add_f32 v[210:211], v[212:213], v[210:211]
	v_pk_mul_f32 v[212:213], v[186:187], s[14:15] op_sel_hi:[1,0]
	v_pk_fma_f32 v[220:221], v[188:189], s[22:23], v[218:219] op_sel:[0,0,1] op_sel_hi:[1,0,0]
	v_pk_fma_f32 v[214:215], v[182:183], s[12:13], v[212:213] op_sel:[0,0,1] op_sel_hi:[1,0,0]
	v_pk_fma_f32 v[212:213], v[182:183], s[12:13], v[212:213] op_sel:[0,0,1] op_sel_hi:[1,0,0] neg_lo:[0,0,1] neg_hi:[0,0,1]
	v_mov_b32_e32 v216, v214
	v_mov_b32_e32 v217, v213
	v_pk_fma_f32 v[218:219], v[188:189], s[22:23], v[218:219] op_sel:[0,0,1] op_sel_hi:[1,0,0] neg_lo:[0,0,1] neg_hi:[0,0,1]
	v_pk_add_f32 v[216:217], v[132:133], v[216:217]
	v_mov_b32_e32 v222, v220
	v_mov_b32_e32 v223, v219
	s_mov_b32 s28, 0x3f68dda4
	v_pk_add_f32 v[216:217], v[222:223], v[216:217]
	v_pk_mul_f32 v[222:223], v[194:195], s[28:29] op_sel_hi:[1,0]
	v_pk_mul_f32 v[236:237], v[190:191], s[30:31] op_sel_hi:[1,0]
	v_pk_fma_f32 v[224:225], v[192:193], s[8:9], v[222:223] op_sel:[0,0,1] op_sel_hi:[1,0,0]
	v_pk_fma_f32 v[222:223], v[192:193], s[8:9], v[222:223] op_sel:[0,0,1] op_sel_hi:[1,0,0] neg_lo:[0,0,1] neg_hi:[0,0,1]
	v_mov_b32_e32 v226, v224
	v_mov_b32_e32 v227, v223
	v_pk_add_f32 v[216:217], v[226:227], v[216:217]
	v_pk_mul_f32 v[226:227], v[198:199], s[16:17] op_sel_hi:[1,0]
	v_pk_fma_f32 v[238:239], v[188:189], s[12:13], v[236:237] op_sel:[0,0,1] op_sel_hi:[1,0,0]
	v_pk_fma_f32 v[230:231], v[196:197], s[0:1], v[226:227] op_sel:[0,0,1] op_sel_hi:[1,0,0]
	v_pk_fma_f32 v[226:227], v[196:197], s[0:1], v[226:227] op_sel:[0,0,1] op_sel_hi:[1,0,0] neg_lo:[0,0,1] neg_hi:[0,0,1]
	v_mov_b32_e32 v228, v230
	v_mov_b32_e32 v229, v227
	v_pk_add_f32 v[216:217], v[228:229], v[216:217]
	v_pk_mul_f32 v[228:229], v[202:203], s[20:21] op_sel_hi:[1,0]
	v_pk_fma_f32 v[236:237], v[188:189], s[12:13], v[236:237] op_sel:[0,0,1] op_sel_hi:[1,0,0] neg_lo:[0,0,1] neg_hi:[0,0,1]
	v_pk_fma_f32 v[232:233], v[200:201], s[18:19], v[228:229] op_sel:[0,0,1] op_sel_hi:[1,0,0]
	v_pk_fma_f32 v[234:235], v[200:201], s[18:19], v[228:229] op_sel:[0,0,1] op_sel_hi:[1,0,0] neg_lo:[0,0,1] neg_hi:[0,0,1]
	v_mov_b32_e32 v228, v232
	v_mov_b32_e32 v229, v235
	v_pk_add_f32 v[216:217], v[228:229], v[216:217]
	ds_write2_b64 v206, v[210:211], v[216:217] offset0:2 offset1:3
	v_pk_mul_f32 v[210:211], v[186:187], s[20:21] op_sel_hi:[1,0]
	v_mov_b32_e32 v240, v238
	v_pk_fma_f32 v[216:217], v[182:183], s[18:19], v[210:211] op_sel:[0,0,1] op_sel_hi:[1,0,0]
	v_pk_fma_f32 v[210:211], v[182:183], s[18:19], v[210:211] op_sel:[0,0,1] op_sel_hi:[1,0,0] neg_lo:[0,0,1] neg_hi:[0,0,1]
	v_mov_b32_e32 v228, v216
	v_mov_b32_e32 v229, v211
	v_pk_add_f32 v[228:229], v[132:133], v[228:229]
	v_mov_b32_e32 v241, v237
	v_pk_add_f32 v[228:229], v[240:241], v[228:229]
	v_pk_mul_f32 v[240:241], v[194:195], s[16:17] op_sel_hi:[1,0]
	v_pk_mul_f32 v[186:187], v[186:187], s[24:25] op_sel_hi:[1,0]
	v_pk_fma_f32 v[242:243], v[192:193], s[0:1], v[240:241] op_sel:[0,0,1] op_sel_hi:[1,0,0]
	v_pk_fma_f32 v[240:241], v[192:193], s[0:1], v[240:241] op_sel:[0,0,1] op_sel_hi:[1,0,0] neg_lo:[0,0,1] neg_hi:[0,0,1]
	v_mov_b32_e32 v244, v242
	v_mov_b32_e32 v245, v241
	v_pk_add_f32 v[228:229], v[244:245], v[228:229]
	v_pk_mul_f32 v[244:245], v[198:199], s[24:25] op_sel_hi:[1,0]
	v_pk_mul_f32 v[194:195], v[194:195], s[20:21] op_sel_hi:[1,0]
	v_pk_fma_f32 v[246:247], v[196:197], s[22:23], v[244:245] op_sel:[0,0,1] op_sel_hi:[1,0,0]
	v_pk_fma_f32 v[244:245], v[196:197], s[22:23], v[244:245] op_sel:[0,0,1] op_sel_hi:[1,0,0] neg_lo:[0,0,1] neg_hi:[0,0,1]
	v_mov_b32_e32 v248, v246
	v_mov_b32_e32 v249, v245
	v_pk_add_f32 v[228:229], v[248:249], v[228:229]
	v_pk_mul_f32 v[248:249], v[202:203], s[28:29] op_sel_hi:[1,0]
	v_mov_b32_e32 v211, v217
	v_pk_fma_f32 v[250:251], v[200:201], s[8:9], v[248:249] op_sel:[0,0,1] op_sel_hi:[1,0,0]
	v_pk_fma_f32 v[248:249], v[200:201], s[8:9], v[248:249] op_sel:[0,0,1] op_sel_hi:[1,0,0] neg_lo:[0,0,1] neg_hi:[0,0,1]
	v_mov_b32_e32 v252, v250
	v_mov_b32_e32 v253, v249
	v_pk_add_f32 v[228:229], v[252:253], v[228:229]
	v_pk_fma_f32 v[252:253], v[182:183], s[22:23], v[186:187] op_sel:[0,0,1] op_sel_hi:[1,0,0]
	v_pk_fma_f32 v[182:183], v[182:183], s[22:23], v[186:187] op_sel:[0,0,1] op_sel_hi:[1,0,0] neg_lo:[0,0,1] neg_hi:[0,0,1]
	v_pk_mul_f32 v[186:187], v[190:191], s[26:27] op_sel_hi:[1,0]
	v_mov_b32_e32 v237, v239
	v_pk_fma_f32 v[190:191], v[188:189], s[0:1], v[186:187] op_sel:[0,0,1] op_sel_hi:[1,0,0]
	v_pk_fma_f32 v[186:187], v[188:189], s[0:1], v[186:187] op_sel:[0,0,1] op_sel_hi:[1,0,0] neg_lo:[0,0,1] neg_hi:[0,0,1]
	v_mov_b32_e32 v188, v252
	v_mov_b32_e32 v189, v183
	v_pk_add_f32 v[188:189], v[132:133], v[188:189]
	v_mov_b32_e32 v254, v190
	v_mov_b32_e32 v255, v187
	v_pk_add_f32 v[188:189], v[254:255], v[188:189]
	v_pk_fma_f32 v[254:255], v[192:193], s[18:19], v[194:195] op_sel:[0,0,1] op_sel_hi:[1,0,0]
	v_pk_fma_f32 v[192:193], v[192:193], s[18:19], v[194:195] op_sel:[0,0,1] op_sel_hi:[1,0,0] neg_lo:[0,0,1] neg_hi:[0,0,1]
	v_mov_b32_e32 v194, v254
	v_mov_b32_e32 v195, v193
	v_pk_add_f32 v[188:189], v[194:195], v[188:189]
	v_pk_mul_f32 v[194:195], v[198:199], s[28:29] op_sel_hi:[1,0]
	v_mov_b32_e32 v183, v253
	v_pk_fma_f32 v[198:199], v[196:197], s[8:9], v[194:195] op_sel:[0,0,1] op_sel_hi:[1,0,0]
	v_pk_fma_f32 v[194:195], v[196:197], s[8:9], v[194:195] op_sel:[0,0,1] op_sel_hi:[1,0,0] neg_lo:[0,0,1] neg_hi:[0,0,1]
	v_mov_b32_e32 v187, v191
	v_pk_add_f32 v[182:183], v[132:133], v[182:183]
	v_mov_b32_e32 v196, v198
	v_mov_b32_e32 v197, v195
	v_pk_add_f32 v[182:183], v[186:187], v[182:183]
	v_pk_add_f32 v[186:187], v[132:133], v[210:211]
	v_mov_b32_e32 v3, v1
	v_pk_add_f32 v[188:189], v[196:197], v[188:189]
	v_pk_mul_f32 v[196:197], v[202:203], s[14:15] op_sel_hi:[1,0]
	v_mov_b32_e32 v193, v255
	v_pk_add_f32 v[186:187], v[236:237], v[186:187]
	v_mov_b32_e32 v241, v243
	v_pk_add_f32 v[0:1], v[132:133], v[2:3]
	v_mov_b32_e32 v7, v5
	v_pk_fma_f32 v[202:203], v[200:201], s[12:13], v[196:197] op_sel:[0,0,1] op_sel_hi:[1,0,0]
	v_pk_fma_f32 v[196:197], v[200:201], s[12:13], v[196:197] op_sel:[0,0,1] op_sel_hi:[1,0,0] neg_lo:[0,0,1] neg_hi:[0,0,1]
	v_pk_add_f32 v[182:183], v[192:193], v[182:183]
	v_mov_b32_e32 v195, v199
	v_pk_add_f32 v[186:187], v[240:241], v[186:187]
	v_mov_b32_e32 v245, v247
	;; [unrolled: 2-line block ×3, first 2 shown]
	v_mov_b32_e32 v201, v197
	v_pk_add_f32 v[182:183], v[194:195], v[182:183]
	v_mov_b32_e32 v197, v203
	v_pk_add_f32 v[186:187], v[244:245], v[186:187]
	;; [unrolled: 2-line block ×4, first 2 shown]
	v_pk_add_f32 v[210:211], v[248:249], v[186:187]
	v_pk_add_f32 v[0:1], v[148:149], v[0:1]
	v_mov_b32_e32 v141, v137
	ds_write2_b64 v206, v[252:253], v[210:211] offset0:6 offset1:7
	v_pk_add_f32 v[210:211], v[134:135], v[166:167]
	v_pk_add_f32 v[0:1], v[140:141], v[0:1]
	ds_write_b64 v206, v[0:1] offset:80
	v_pk_add_f32 v[0:1], v[210:211], v[162:163]
	v_mov_b32_e32 v157, v153
	v_pk_add_f32 v[0:1], v[0:1], v[154:155]
	v_mov_b32_e32 v213, v215
	v_pk_add_f32 v[0:1], v[0:1], v[146:147]
	v_pk_add_f32 v[152:153], v[132:133], v[156:157]
	;; [unrolled: 1-line block ×3, first 2 shown]
	v_mov_b32_e32 v165, v161
	v_pk_add_f32 v[0:1], v[0:1], v[142:143]
	v_pk_add_f32 v[212:213], v[132:133], v[212:213]
	;; [unrolled: 1-line block ×3, first 2 shown]
	v_mov_b32_e32 v219, v221
	v_pk_add_f32 v[152:153], v[164:165], v[152:153]
	v_mov_b32_e32 v173, v169
	v_pk_add_f32 v[0:1], v[0:1], v[158:159]
	v_pk_add_f32 v[164:165], v[174:175], v[166:167]
	v_pk_add_f32 v[166:167], v[166:167], v[174:175] neg_lo:[0,1] neg_hi:[0,1]
	v_pk_add_f32 v[212:213], v[218:219], v[212:213]
	v_mov_b32_e32 v223, v225
	v_pk_add_f32 v[152:153], v[172:173], v[152:153]
	v_mov_b32_e32 v181, v177
	v_pk_add_f32 v[0:1], v[0:1], v[170:171]
	v_pk_mul_f32 v[2:3], v[166:167], s[16:17] op_sel_hi:[1,0]
	v_pk_add_f32 v[168:169], v[170:171], v[162:163]
	v_pk_add_f32 v[170:171], v[162:163], v[170:171] neg_lo:[0,1] neg_hi:[0,1]
	v_pk_add_f32 v[212:213], v[222:223], v[212:213]
	v_mov_b32_e32 v227, v231
	v_pk_add_f32 v[152:153], v[180:181], v[152:153]
	v_pk_fma_f32 v[180:181], v[164:165], s[0:1], v[2:3] op_sel:[0,0,1] op_sel_hi:[1,0,0]
	v_pk_fma_f32 v[224:225], v[164:165], s[0:1], v[2:3] op_sel:[0,0,1] op_sel_hi:[1,0,0] neg_lo:[0,0,1] neg_hi:[0,0,1]
	v_pk_mul_f32 v[4:5], v[170:171], s[34:35] op_sel_hi:[1,0]
	v_pk_add_f32 v[212:213], v[226:227], v[212:213]
	v_mov_b32_e32 v205, v185
	v_pk_add_f32 v[132:133], v[0:1], v[174:175]
	v_mov_b32_e32 v2, v180
	v_mov_b32_e32 v3, v225
	v_pk_fma_f32 v[0:1], v[168:169], s[8:9], v[4:5] op_sel:[0,0,1] op_sel_hi:[1,0,0]
	v_pk_fma_f32 v[226:227], v[168:169], s[8:9], v[4:5] op_sel:[0,0,1] op_sel_hi:[1,0,0] neg_lo:[0,0,1] neg_hi:[0,0,1]
	v_pk_add_f32 v[152:153], v[204:205], v[152:153]
	v_pk_add_f32 v[2:3], v[134:135], v[2:3]
	v_mov_b32_e32 v4, v0
	v_mov_b32_e32 v5, v227
	v_pk_add_f32 v[204:205], v[154:155], v[158:159] neg_lo:[0,1] neg_hi:[0,1]
	v_pk_add_f32 v[6:7], v[4:5], v[2:3]
	v_pk_add_f32 v[184:185], v[158:159], v[154:155]
	v_pk_mul_f32 v[2:3], v[204:205], s[14:15] op_sel_hi:[1,0]
	v_mov_b32_e32 v200, v202
	v_mov_b32_e32 v235, v233
	v_pk_fma_f32 v[4:5], v[184:185], s[12:13], v[2:3] op_sel:[0,0,1] op_sel_hi:[1,0,0]
	v_pk_fma_f32 v[2:3], v[184:185], s[12:13], v[2:3] op_sel:[0,0,1] op_sel_hi:[1,0,0] neg_lo:[0,0,1] neg_hi:[0,0,1]
	v_pk_add_f32 v[188:189], v[200:201], v[188:189]
	v_pk_add_f32 v[212:213], v[234:235], v[212:213]
	v_mov_b32_e32 v8, v4
	v_mov_b32_e32 v9, v3
	v_pk_add_f32 v[210:211], v[146:147], v[150:151] neg_lo:[0,1] neg_hi:[0,1]
	ds_write2_b64 v206, v[228:229], v[188:189] offset0:4 offset1:5
	ds_write2_b64 v206, v[212:213], v[152:153] offset0:8 offset1:9
	v_pk_add_f32 v[10:11], v[8:9], v[6:7]
	v_pk_add_f32 v[206:207], v[150:151], v[146:147]
	v_pk_mul_f32 v[6:7], v[210:211], s[20:21] op_sel_hi:[1,0]
	v_pk_add_f32 v[214:215], v[138:139], v[142:143] neg_lo:[0,1] neg_hi:[0,1]
	v_pk_fma_f32 v[8:9], v[206:207], s[18:19], v[6:7] op_sel:[0,0,1] op_sel_hi:[1,0,0]
	v_pk_fma_f32 v[6:7], v[206:207], s[18:19], v[6:7] op_sel:[0,0,1] op_sel_hi:[1,0,0] neg_lo:[0,0,1] neg_hi:[0,0,1]
	v_mov_b32_e32 v136, v8
	v_mov_b32_e32 v137, v7
	v_pk_add_f32 v[136:137], v[136:137], v[10:11]
	v_pk_add_f32 v[212:213], v[142:143], v[138:139]
	v_pk_mul_f32 v[10:11], v[214:215], s[24:25] op_sel_hi:[1,0]
	v_accvgpr_read_b32 v12, a62
	v_pk_fma_f32 v[176:177], v[212:213], s[22:23], v[10:11] op_sel:[0,0,1] op_sel_hi:[1,0,0]
	v_pk_fma_f32 v[10:11], v[212:213], s[22:23], v[10:11] op_sel:[0,0,1] op_sel_hi:[1,0,0] neg_lo:[0,0,1] neg_hi:[0,0,1]
	v_mov_b32_e32 v138, v176
	v_mov_b32_e32 v139, v11
	v_pk_add_f32 v[136:137], v[138:139], v[136:137]
	ds_write2_b64 v179, v[132:133], v[136:137] offset1:1
	v_pk_mul_f32 v[132:133], v[166:167], s[34:35] op_sel_hi:[1,0]
	v_pk_mul_f32 v[136:137], v[170:171], s[20:21] op_sel_hi:[1,0]
	v_pk_fma_f32 v[152:153], v[164:165], s[8:9], v[132:133] op_sel:[0,0,1] op_sel_hi:[1,0,0]
	v_pk_fma_f32 v[150:151], v[164:165], s[8:9], v[132:133] op_sel:[0,0,1] op_sel_hi:[1,0,0] neg_lo:[0,0,1] neg_hi:[0,0,1]
	v_mov_b32_e32 v132, v152
	v_mov_b32_e32 v133, v151
	v_pk_fma_f32 v[148:149], v[168:169], s[18:19], v[136:137] op_sel:[0,0,1] op_sel_hi:[1,0,0]
	v_pk_fma_f32 v[174:175], v[168:169], s[18:19], v[136:137] op_sel:[0,0,1] op_sel_hi:[1,0,0] neg_lo:[0,0,1] neg_hi:[0,0,1]
	v_pk_add_f32 v[132:133], v[134:135], v[132:133]
	v_mov_b32_e32 v136, v148
	v_mov_b32_e32 v137, v175
	v_pk_add_f32 v[132:133], v[136:137], v[132:133]
	v_pk_mul_f32 v[136:137], v[204:205], s[36:37] op_sel_hi:[1,0]
	v_pk_mul_f32 v[138:139], v[170:171], s[36:37] op_sel_hi:[1,0]
	v_pk_fma_f32 v[154:155], v[184:185], s[22:23], v[136:137] op_sel:[0,0,1] op_sel_hi:[1,0,0]
	v_pk_fma_f32 v[156:157], v[184:185], s[22:23], v[136:137] op_sel:[0,0,1] op_sel_hi:[1,0,0] neg_lo:[0,0,1] neg_hi:[0,0,1]
	v_mov_b32_e32 v136, v154
	v_mov_b32_e32 v137, v157
	v_pk_add_f32 v[132:133], v[136:137], v[132:133]
	v_pk_mul_f32 v[136:137], v[210:211], s[30:31] op_sel_hi:[1,0]
	v_pk_fma_f32 v[232:233], v[168:169], s[22:23], v[138:139] op_sel:[0,0,1] op_sel_hi:[1,0,0]
	v_pk_fma_f32 v[172:173], v[206:207], s[12:13], v[136:137] op_sel:[0,0,1] op_sel_hi:[1,0,0]
	v_pk_fma_f32 v[162:163], v[206:207], s[12:13], v[136:137] op_sel:[0,0,1] op_sel_hi:[1,0,0] neg_lo:[0,0,1] neg_hi:[0,0,1]
	v_mov_b32_e32 v136, v172
	v_mov_b32_e32 v137, v163
	v_pk_add_f32 v[132:133], v[136:137], v[132:133]
	v_pk_mul_f32 v[136:137], v[214:215], s[26:27] op_sel_hi:[1,0]
	v_pk_fma_f32 v[230:231], v[168:169], s[22:23], v[138:139] op_sel:[0,0,1] op_sel_hi:[1,0,0] neg_lo:[0,0,1] neg_hi:[0,0,1]
	v_pk_fma_f32 v[160:161], v[212:213], s[0:1], v[136:137] op_sel:[0,0,1] op_sel_hi:[1,0,0]
	v_pk_fma_f32 v[158:159], v[212:213], s[0:1], v[136:137] op_sel:[0,0,1] op_sel_hi:[1,0,0] neg_lo:[0,0,1] neg_hi:[0,0,1]
	v_mov_b32_e32 v136, v160
	v_mov_b32_e32 v137, v159
	v_pk_add_f32 v[216:217], v[136:137], v[132:133]
	v_pk_mul_f32 v[132:133], v[166:167], s[14:15] op_sel_hi:[1,0]
	v_mov_b32_e32 v138, v232
	v_pk_fma_f32 v[236:237], v[164:165], s[12:13], v[132:133] op_sel:[0,0,1] op_sel_hi:[1,0,0]
	v_pk_fma_f32 v[132:133], v[164:165], s[12:13], v[132:133] op_sel:[0,0,1] op_sel_hi:[1,0,0] neg_lo:[0,0,1] neg_hi:[0,0,1]
	v_mov_b32_e32 v136, v236
	v_mov_b32_e32 v137, v133
	v_pk_add_f32 v[136:137], v[134:135], v[136:137]
	v_mov_b32_e32 v139, v231
	v_pk_add_f32 v[140:141], v[138:139], v[136:137]
	v_pk_mul_f32 v[138:139], v[204:205], s[28:29] op_sel_hi:[1,0]
	v_accvgpr_read_b32 v13, a63
	v_pk_fma_f32 v[136:137], v[184:185], s[8:9], v[138:139] op_sel:[0,0,1] op_sel_hi:[1,0,0]
	v_pk_fma_f32 v[138:139], v[184:185], s[8:9], v[138:139] op_sel:[0,0,1] op_sel_hi:[1,0,0] neg_lo:[0,0,1] neg_hi:[0,0,1]
	v_mov_b32_e32 v142, v136
	v_mov_b32_e32 v143, v139
	v_pk_add_f32 v[144:145], v[142:143], v[140:141]
	v_pk_mul_f32 v[142:143], v[210:211], s[16:17] op_sel_hi:[1,0]
	v_accvgpr_read_b32 v14, a64
	v_pk_fma_f32 v[140:141], v[206:207], s[0:1], v[142:143] op_sel:[0,0,1] op_sel_hi:[1,0,0]
	v_pk_fma_f32 v[142:143], v[206:207], s[0:1], v[142:143] op_sel:[0,0,1] op_sel_hi:[1,0,0] neg_lo:[0,0,1] neg_hi:[0,0,1]
	v_mov_b32_e32 v146, v140
	;; [unrolled: 7-line block ×3, first 2 shown]
	v_mov_b32_e32 v221, v147
	v_pk_add_f32 v[218:219], v[220:221], v[218:219]
	ds_write2_b64 v179, v[216:217], v[218:219] offset0:2 offset1:3
	v_pk_mul_f32 v[216:217], v[166:167], s[20:21] op_sel_hi:[1,0]
	v_pk_mul_f32 v[166:167], v[166:167], s[24:25] op_sel_hi:[1,0]
	v_pk_fma_f32 v[234:235], v[164:165], s[18:19], v[216:217] op_sel:[0,0,1] op_sel_hi:[1,0,0]
	v_pk_fma_f32 v[238:239], v[164:165], s[18:19], v[216:217] op_sel:[0,0,1] op_sel_hi:[1,0,0] neg_lo:[0,0,1] neg_hi:[0,0,1]
	v_pk_mul_f32 v[218:219], v[170:171], s[30:31] op_sel_hi:[1,0]
	v_pk_fma_f32 v[220:221], v[164:165], s[22:23], v[166:167] op_sel:[0,0,1] op_sel_hi:[1,0,0]
	v_pk_fma_f32 v[164:165], v[164:165], s[22:23], v[166:167] op_sel:[0,0,1] op_sel_hi:[1,0,0] neg_lo:[0,0,1] neg_hi:[0,0,1]
	v_pk_mul_f32 v[170:171], v[170:171], s[26:27] op_sel_hi:[1,0]
	v_mov_b32_e32 v216, v234
	v_mov_b32_e32 v217, v239
	v_pk_fma_f32 v[240:241], v[168:169], s[12:13], v[218:219] op_sel:[0,0,1] op_sel_hi:[1,0,0]
	v_pk_fma_f32 v[242:243], v[168:169], s[12:13], v[218:219] op_sel:[0,0,1] op_sel_hi:[1,0,0] neg_lo:[0,0,1] neg_hi:[0,0,1]
	v_mov_b32_e32 v166, v220
	v_mov_b32_e32 v167, v165
	v_pk_fma_f32 v[250:251], v[168:169], s[0:1], v[170:171] op_sel:[0,0,1] op_sel_hi:[1,0,0]
	v_pk_fma_f32 v[168:169], v[168:169], s[0:1], v[170:171] op_sel:[0,0,1] op_sel_hi:[1,0,0] neg_lo:[0,0,1] neg_hi:[0,0,1]
	v_pk_add_f32 v[216:217], v[134:135], v[216:217]
	v_mov_b32_e32 v218, v240
	v_mov_b32_e32 v219, v243
	v_pk_add_f32 v[166:167], v[134:135], v[166:167]
	v_mov_b32_e32 v170, v250
	v_mov_b32_e32 v171, v169
	v_pk_add_f32 v[216:217], v[218:219], v[216:217]
	v_pk_mul_f32 v[218:219], v[204:205], s[16:17] op_sel_hi:[1,0]
	v_pk_add_f32 v[166:167], v[170:171], v[166:167]
	v_pk_mul_f32 v[170:171], v[204:205], s[20:21] op_sel_hi:[1,0]
	v_pk_fma_f32 v[244:245], v[184:185], s[0:1], v[218:219] op_sel:[0,0,1] op_sel_hi:[1,0,0]
	v_pk_fma_f32 v[246:247], v[184:185], s[0:1], v[218:219] op_sel:[0,0,1] op_sel_hi:[1,0,0] neg_lo:[0,0,1] neg_hi:[0,0,1]
	v_pk_fma_f32 v[252:253], v[184:185], s[18:19], v[170:171] op_sel:[0,0,1] op_sel_hi:[1,0,0]
	v_pk_fma_f32 v[170:171], v[184:185], s[18:19], v[170:171] op_sel:[0,0,1] op_sel_hi:[1,0,0] neg_lo:[0,0,1] neg_hi:[0,0,1]
	v_mov_b32_e32 v218, v244
	v_mov_b32_e32 v219, v247
	;; [unrolled: 1-line block ×4, first 2 shown]
	v_pk_add_f32 v[216:217], v[218:219], v[216:217]
	v_pk_mul_f32 v[218:219], v[210:211], s[24:25] op_sel_hi:[1,0]
	v_pk_add_f32 v[166:167], v[184:185], v[166:167]
	v_pk_mul_f32 v[184:185], v[210:211], s[28:29] op_sel_hi:[1,0]
	v_pk_fma_f32 v[208:209], v[206:207], s[22:23], v[218:219] op_sel:[0,0,1] op_sel_hi:[1,0,0]
	v_pk_fma_f32 v[248:249], v[206:207], s[22:23], v[218:219] op_sel:[0,0,1] op_sel_hi:[1,0,0] neg_lo:[0,0,1] neg_hi:[0,0,1]
	v_pk_fma_f32 v[254:255], v[206:207], s[8:9], v[184:185] op_sel:[0,0,1] op_sel_hi:[1,0,0]
	v_pk_fma_f32 v[184:185], v[206:207], s[8:9], v[184:185] op_sel:[0,0,1] op_sel_hi:[1,0,0] neg_lo:[0,0,1] neg_hi:[0,0,1]
	v_mov_b32_e32 v218, v208
	v_mov_b32_e32 v219, v249
	;; [unrolled: 1-line block ×10, first 2 shown]
	v_accvgpr_write_b32 a79, v15
	v_pk_add_f32 v[216:217], v[218:219], v[216:217]
	v_pk_mul_f32 v[218:219], v[214:215], s[28:29] op_sel_hi:[1,0]
	v_pk_add_f32 v[166:167], v[204:205], v[166:167]
	v_pk_mul_f32 v[204:205], v[214:215], s[14:15] op_sel_hi:[1,0]
	v_accvgpr_write_b32 a78, v14
	v_accvgpr_write_b32 a77, v13
	;; [unrolled: 1-line block ×4, first 2 shown]
	v_pk_fma_f32 v[68:69], v[212:213], s[8:9], v[218:219] op_sel:[0,0,1] op_sel_hi:[1,0,0]
	v_pk_fma_f32 v[70:71], v[212:213], s[8:9], v[218:219] op_sel:[0,0,1] op_sel_hi:[1,0,0] neg_lo:[0,0,1] neg_hi:[0,0,1]
	v_pk_fma_f32 v[12:13], v[212:213], s[12:13], v[204:205] op_sel:[0,0,1] op_sel_hi:[1,0,0]
	v_pk_fma_f32 v[0:1], v[212:213], s[12:13], v[204:205] op_sel:[0,0,1] op_sel_hi:[1,0,0] neg_lo:[0,0,1] neg_hi:[0,0,1]
	v_mov_b32_e32 v218, v68
	v_mov_b32_e32 v219, v71
	;; [unrolled: 1-line block ×4, first 2 shown]
	v_pk_add_f32 v[216:217], v[218:219], v[216:217]
	v_pk_add_f32 v[14:15], v[14:15], v[166:167]
	v_mov_b32_e32 v165, v221
	v_mov_b32_e32 v239, v235
	ds_write2_b64 v179, v[216:217], v[14:15] offset0:4 offset1:5
	v_mov_b32_e32 v169, v251
	v_pk_add_f32 v[14:15], v[134:135], v[164:165]
	v_mov_b32_e32 v1, v13
	v_mov_b32_e32 v243, v241
	v_pk_add_f32 v[12:13], v[134:135], v[238:239]
	v_pk_add_f32 v[14:15], v[168:169], v[14:15]
	v_mov_b32_e32 v171, v253
	v_pk_add_f32 v[12:13], v[242:243], v[12:13]
	v_mov_b32_e32 v247, v245
	v_pk_add_f32 v[14:15], v[170:171], v[14:15]
	v_mov_b32_e32 v185, v255
	v_pk_add_f32 v[12:13], v[246:247], v[12:13]
	v_mov_b32_e32 v249, v209
	v_pk_add_f32 v[14:15], v[184:185], v[14:15]
	v_pk_add_f32 v[12:13], v[248:249], v[12:13]
	v_mov_b32_e32 v71, v69
	v_pk_add_f32 v[0:1], v[0:1], v[14:15]
	v_pk_add_f32 v[12:13], v[70:71], v[12:13]
	ds_write2_b64 v179, v[0:1], v[12:13] offset0:6 offset1:7
	v_mov_b32_e32 v13, v116
	v_mov_b32_e32 v12, v116
	v_accvgpr_write_b32 a89, v13
	v_accvgpr_write_b32 a88, v12
	v_mov_b32_e32 v13, v108
	v_mov_b32_e32 v12, v108
	v_accvgpr_write_b32 a93, v13
	v_accvgpr_write_b32 a92, v12
	v_mov_b32_e32 v13, v104
	v_mov_b32_e32 v133, v237
	;; [unrolled: 1-line block ×4, first 2 shown]
	v_accvgpr_write_b32 a95, v13
	v_mov_b32_e32 v231, v233
	v_pk_add_f32 v[0:1], v[134:135], v[132:133]
	v_mov_b32_e32 v175, v149
	v_accvgpr_write_b32 a94, v12
	v_pk_add_f32 v[12:13], v[134:135], v[150:151]
	v_pk_add_f32 v[0:1], v[230:231], v[0:1]
	v_mov_b32_e32 v139, v137
	v_pk_add_f32 v[12:13], v[174:175], v[12:13]
	v_mov_b32_e32 v157, v155
	;; [unrolled: 2-line block ×6, first 2 shown]
	v_pk_add_f32 v[0:1], v[146:147], v[0:1]
	v_pk_add_f32 v[12:13], v[158:159], v[12:13]
	ds_write2_b64 v179, v[0:1], v[12:13] offset0:8 offset1:9
	v_mov_b32_e32 v1, v92
	v_mov_b32_e32 v0, v92
	v_accvgpr_write_b32 a109, v1
	v_mov_b32_e32 v15, v96
	v_accvgpr_write_b32 a108, v0
	v_mov_b32_e32 v1, v84
	v_mov_b32_e32 v14, v96
	v_accvgpr_write_b32 a101, v15
	v_mov_b32_e32 v225, v181
	v_mov_b32_e32 v0, v84
	v_accvgpr_write_b32 a111, v1
	v_accvgpr_write_b32 a100, v14
	v_mov_b32_e32 v15, v124
	v_accvgpr_write_b32 a110, v0
	v_pk_add_f32 v[0:1], v[134:135], v[224:225]
	v_accvgpr_read_b32 v227, a107
	v_mov_b32_e32 v14, v124
	v_accvgpr_write_b32 a113, v15
	v_pk_add_f32 v[0:1], v[226:227], v[0:1]
	v_mov_b32_e32 v3, v5
	v_accvgpr_write_b32 a112, v14
	v_mov_b32_e32 v15, v120
	v_pk_add_f32 v[0:1], v[2:3], v[0:1]
	v_mov_b32_e32 v7, v9
	v_mov_b32_e32 v186, v32
	;; [unrolled: 1-line block ×7, first 2 shown]
	v_accvgpr_write_b32 a73, v35
	v_mov_b32_e32 v216, v28
	v_mov_b32_e32 v217, v28
	v_mov_b32_e32 v28, v29
	v_mov_b32_e32 v206, v30
	v_mov_b32_e32 v207, v30
	v_mov_b32_e32 v30, v31
	v_accvgpr_write_b32 a65, v31
	v_mov_b32_e32 v14, v120
	v_accvgpr_write_b32 a117, v15
	v_pk_add_f32 v[0:1], v[6:7], v[0:1]
	v_mov_b32_e32 v11, v177
	v_mov_b32_e32 v202, v48
	;; [unrolled: 1-line block ×25, first 2 shown]
	v_accvgpr_write_b32 a72, v34
	v_accvgpr_write_b32 a71, v33
	;; [unrolled: 1-line block ×3, first 2 shown]
	v_mov_b32_e32 v218, v16
	v_mov_b32_e32 v219, v16
	;; [unrolled: 1-line block ×6, first 2 shown]
	v_accvgpr_write_b32 a64, v30
	v_accvgpr_write_b32 a63, v29
	;; [unrolled: 1-line block ×3, first 2 shown]
	v_mov_b32_e32 v204, v20
	v_mov_b32_e32 v205, v20
	;; [unrolled: 1-line block ×69, first 2 shown]
	v_accvgpr_write_b32 a86, v102
	v_accvgpr_write_b32 a87, v102
	v_mov_b32_e32 v102, v103
	v_mov_b32_e32 v116, v117
	v_accvgpr_write_b32 a90, v118
	v_accvgpr_write_b32 a91, v118
	v_mov_b32_e32 v118, v119
	v_mov_b32_e32 v108, v109
	;; [unrolled: 4-line block ×5, first 2 shown]
	v_accvgpr_write_b32 a114, v126
	v_accvgpr_write_b32 a115, v126
	v_mov_b32_e32 v126, v127
	v_accvgpr_write_b32 a116, v14
	v_mov_b32_e32 v120, v121
	v_accvgpr_write_b32 a118, v122
	v_accvgpr_write_b32 a119, v122
	v_mov_b32_e32 v122, v123
	v_mov_b32_e32 v92, v93
	v_accvgpr_write_b32 a104, v94
	v_accvgpr_write_b32 a105, v94
	v_mov_b32_e32 v94, v95
	v_mov_b32_e32 v84, v85
	;; [unrolled: 1-line block ×5, first 2 shown]
	v_pk_add_f32 v[0:1], v[10:11], v[0:1]
	ds_write_b64 v179, v[0:1] offset:80
	s_and_saveexec_b64 s[38:39], vcc
	s_cbranch_execz .LBB0_13
; %bb.12:
	v_accvgpr_read_b32 v28, a66
	v_pk_add_f32 v[0:1], v[130:131], v[128:129]
	v_accvgpr_read_b32 v29, a67
	v_accvgpr_read_b32 v30, a68
	;; [unrolled: 1-line block ×3, first 2 shown]
	v_accvgpr_write_b32 a69, v19
	v_pk_add_f32 v[0:1], v[28:29], v[0:1]
	v_accvgpr_write_b32 a68, v18
	v_accvgpr_write_b32 a67, v17
	v_accvgpr_write_b32 a66, v16
	v_accvgpr_read_b32 v16, a52
	v_pk_add_f32 v[0:1], v[30:31], v[0:1]
	v_accvgpr_read_b32 v17, a53
	v_accvgpr_read_b32 v18, a54
	v_accvgpr_read_b32 v19, a55
	v_accvgpr_write_b32 a55, v23
	v_pk_add_f32 v[0:1], v[16:17], v[0:1]
	v_accvgpr_write_b32 a54, v22
	v_accvgpr_write_b32 a53, v21
	;; [unrolled: 1-line block ×3, first 2 shown]
	v_accvgpr_read_b32 v20, a56
	v_accvgpr_read_b32 v2, a84
	v_pk_add_f32 v[0:1], v[18:19], v[0:1]
	v_accvgpr_read_b32 v21, a57
	v_accvgpr_read_b32 v6, a82
	v_lshlrev_b32_e32 v179, 3, v2
	v_accvgpr_read_b32 v22, a58
	v_accvgpr_read_b32 v23, a59
	v_pk_add_f32 v[0:1], v[20:21], v[0:1]
	v_accvgpr_read_b32 v2, a48
	v_accvgpr_read_b32 v7, a83
	v_pk_add_f32 v[0:1], v[22:23], v[0:1]
	v_accvgpr_read_b32 v3, a49
	v_pk_add_f32 v[12:13], v[130:131], v[6:7] neg_lo:[0,1] neg_hi:[0,1]
	v_accvgpr_read_b32 v4, a50
	v_accvgpr_read_b32 v5, a51
	v_pk_add_f32 v[0:1], v[2:3], v[0:1]
	v_pk_add_f32 v[10:11], v[6:7], v[130:131]
	;; [unrolled: 1-line block ×3, first 2 shown]
	v_pk_add_f32 v[130:131], v[30:31], v[2:3] neg_lo:[0,1] neg_hi:[0,1]
	v_pk_mul_f32 v[2:3], v[12:13], s[16:17] op_sel_hi:[1,0]
	v_pk_add_f32 v[0:1], v[4:5], v[0:1]
	v_pk_add_f32 v[14:15], v[4:5], v[28:29]
	v_pk_add_f32 v[68:69], v[28:29], v[4:5] neg_lo:[0,1] neg_hi:[0,1]
	v_pk_fma_f32 v[4:5], v[10:11], s[0:1], v[2:3] op_sel:[0,0,1] op_sel_hi:[1,0,0]
	v_pk_fma_f32 v[2:3], v[10:11], s[0:1], v[2:3] op_sel:[0,0,1] op_sel_hi:[1,0,0] neg_lo:[0,0,1] neg_hi:[0,0,1]
	v_pk_add_f32 v[8:9], v[6:7], v[0:1]
	v_accvgpr_write_b32 a121, v5
	v_mov_b32_e32 v5, v3
	v_pk_mul_f32 v[6:7], v[68:69], s[34:35] op_sel_hi:[1,0]
	v_pk_add_f32 v[226:227], v[128:129], v[4:5]
	v_pk_fma_f32 v[4:5], v[14:15], s[8:9], v[6:7] op_sel:[0,0,1] op_sel_hi:[1,0,0]
	v_pk_fma_f32 v[6:7], v[14:15], s[8:9], v[6:7] op_sel:[0,0,1] op_sel_hi:[1,0,0] neg_lo:[0,0,1] neg_hi:[0,0,1]
	v_accvgpr_write_b32 a123, v5
	v_mov_b32_e32 v5, v7
	v_pk_add_f32 v[4:5], v[4:5], v[226:227]
	v_pk_mul_f32 v[226:227], v[130:131], s[14:15] op_sel_hi:[1,0]
	v_pk_add_f32 v[180:181], v[16:17], v[22:23] neg_lo:[0,1] neg_hi:[0,1]
	v_pk_fma_f32 v[0:1], v[70:71], s[12:13], v[226:227] op_sel:[0,0,1] op_sel_hi:[1,0,0]
	v_pk_fma_f32 v[226:227], v[70:71], s[12:13], v[226:227] op_sel:[0,0,1] op_sel_hi:[1,0,0] neg_lo:[0,0,1] neg_hi:[0,0,1]
	v_accvgpr_write_b32 a125, v1
	v_mov_b32_e32 v1, v227
	v_pk_add_f32 v[176:177], v[22:23], v[16:17]
	v_pk_add_f32 v[0:1], v[0:1], v[4:5]
	v_pk_mul_f32 v[4:5], v[180:181], s[20:21] op_sel_hi:[1,0]
	v_accvgpr_write_b32 a106, v224
	v_pk_fma_f32 v[16:17], v[176:177], s[18:19], v[4:5] op_sel:[0,0,1] op_sel_hi:[1,0,0]
	v_pk_fma_f32 v[136:137], v[176:177], s[18:19], v[4:5] op_sel:[0,0,1] op_sel_hi:[1,0,0] neg_lo:[0,0,1] neg_hi:[0,0,1]
	v_accvgpr_write_b32 a56, v208
	v_accvgpr_write_b32 a107, v225
	v_pk_add_f32 v[224:225], v[18:19], v[20:21] neg_lo:[0,1] neg_hi:[0,1]
	v_mov_b32_e32 v4, v16
	v_mov_b32_e32 v5, v137
	v_accvgpr_write_b32 a57, v209
	v_pk_add_f32 v[208:209], v[20:21], v[18:19]
	v_pk_add_f32 v[0:1], v[4:5], v[0:1]
	v_pk_mul_f32 v[4:5], v[224:225], s[24:25] op_sel_hi:[1,0]
	v_accvgpr_write_b32 a127, v17
	v_pk_fma_f32 v[16:17], v[208:209], s[22:23], v[4:5] op_sel:[0,0,1] op_sel_hi:[1,0,0]
	v_pk_fma_f32 v[140:141], v[208:209], s[22:23], v[4:5] op_sel:[0,0,1] op_sel_hi:[1,0,0] neg_lo:[0,0,1] neg_hi:[0,0,1]
	v_mov_b32_e32 v4, v16
	v_mov_b32_e32 v5, v141
	v_pk_add_f32 v[0:1], v[4:5], v[0:1]
	ds_write2_b64 v179, v[8:9], v[0:1] offset1:1
	v_pk_mul_f32 v[0:1], v[12:13], s[34:35] op_sel_hi:[1,0]
	v_pk_mul_f32 v[132:133], v[68:69], s[20:21] op_sel_hi:[1,0]
	v_pk_fma_f32 v[8:9], v[10:11], s[8:9], v[0:1] op_sel:[0,0,1] op_sel_hi:[1,0,0]
	v_pk_fma_f32 v[0:1], v[10:11], s[8:9], v[0:1] op_sel:[0,0,1] op_sel_hi:[1,0,0] neg_lo:[0,0,1] neg_hi:[0,0,1]
	v_mov_b32_e32 v3, v9
	v_mov_b32_e32 v9, v1
	v_pk_fma_f32 v[138:139], v[14:15], s[18:19], v[132:133] op_sel:[0,0,1] op_sel_hi:[1,0,0]
	v_pk_fma_f32 v[132:133], v[14:15], s[18:19], v[132:133] op_sel:[0,0,1] op_sel_hi:[1,0,0] neg_lo:[0,0,1] neg_hi:[0,0,1]
	v_pk_add_f32 v[8:9], v[128:129], v[8:9]
	v_mov_b32_e32 v7, v139
	v_mov_b32_e32 v139, v133
	v_pk_add_f32 v[8:9], v[138:139], v[8:9]
	v_pk_mul_f32 v[138:139], v[130:131], s[36:37] op_sel_hi:[1,0]
	v_pk_mul_f32 v[134:135], v[68:69], s[36:37] op_sel_hi:[1,0]
	v_pk_fma_f32 v[150:151], v[70:71], s[22:23], v[138:139] op_sel:[0,0,1] op_sel_hi:[1,0,0]
	v_pk_fma_f32 v[138:139], v[70:71], s[22:23], v[138:139] op_sel:[0,0,1] op_sel_hi:[1,0,0] neg_lo:[0,0,1] neg_hi:[0,0,1]
	v_mov_b32_e32 v137, v151
	v_mov_b32_e32 v151, v139
	v_pk_add_f32 v[8:9], v[150:151], v[8:9]
	v_pk_mul_f32 v[150:151], v[180:181], s[30:31] op_sel_hi:[1,0]
	v_pk_fma_f32 v[160:161], v[14:15], s[22:23], v[134:135] op_sel:[0,0,1] op_sel_hi:[1,0,0]
	v_pk_fma_f32 v[142:143], v[176:177], s[12:13], v[150:151] op_sel:[0,0,1] op_sel_hi:[1,0,0]
	v_pk_fma_f32 v[150:151], v[176:177], s[12:13], v[150:151] op_sel:[0,0,1] op_sel_hi:[1,0,0] neg_lo:[0,0,1] neg_hi:[0,0,1]
	v_mov_b32_e32 v156, v142
	v_mov_b32_e32 v157, v151
	v_pk_add_f32 v[8:9], v[156:157], v[8:9]
	v_pk_mul_f32 v[156:157], v[224:225], s[26:27] op_sel_hi:[1,0]
	v_pk_fma_f32 v[134:135], v[14:15], s[22:23], v[134:135] op_sel:[0,0,1] op_sel_hi:[1,0,0] neg_lo:[0,0,1] neg_hi:[0,0,1]
	v_pk_fma_f32 v[148:149], v[208:209], s[0:1], v[156:157] op_sel:[0,0,1] op_sel_hi:[1,0,0]
	v_pk_fma_f32 v[156:157], v[208:209], s[0:1], v[156:157] op_sel:[0,0,1] op_sel_hi:[1,0,0] neg_lo:[0,0,1] neg_hi:[0,0,1]
	v_mov_b32_e32 v146, v148
	v_mov_b32_e32 v147, v157
	v_pk_add_f32 v[8:9], v[146:147], v[8:9]
	v_pk_mul_f32 v[146:147], v[12:13], s[14:15] op_sel_hi:[1,0]
	v_mov_b32_e32 v4, v160
	v_pk_fma_f32 v[158:159], v[10:11], s[12:13], v[146:147] op_sel:[0,0,1] op_sel_hi:[1,0,0]
	v_pk_fma_f32 v[146:147], v[10:11], s[12:13], v[146:147] op_sel:[0,0,1] op_sel_hi:[1,0,0] neg_lo:[0,0,1] neg_hi:[0,0,1]
	v_mov_b32_e32 v154, v158
	v_mov_b32_e32 v155, v147
	v_pk_add_f32 v[154:155], v[128:129], v[154:155]
	v_mov_b32_e32 v5, v135
	v_pk_add_f32 v[4:5], v[4:5], v[154:155]
	v_pk_mul_f32 v[154:155], v[130:131], s[28:29] op_sel_hi:[1,0]
	v_accvgpr_write_b32 a129, v17
	v_pk_fma_f32 v[16:17], v[70:71], s[8:9], v[154:155] op_sel:[0,0,1] op_sel_hi:[1,0,0]
	v_pk_fma_f32 v[154:155], v[70:71], s[8:9], v[154:155] op_sel:[0,0,1] op_sel_hi:[1,0,0] neg_lo:[0,0,1] neg_hi:[0,0,1]
	v_pk_mul_f32 v[18:19], v[180:181], s[16:17] op_sel_hi:[1,0]
	v_mov_b32_e32 v162, v16
	v_mov_b32_e32 v163, v155
	v_pk_fma_f32 v[174:175], v[176:177], s[0:1], v[18:19] op_sel:[0,0,1] op_sel_hi:[1,0,0]
	v_pk_fma_f32 v[18:19], v[176:177], s[0:1], v[18:19] op_sel:[0,0,1] op_sel_hi:[1,0,0] neg_lo:[0,0,1] neg_hi:[0,0,1]
	v_pk_add_f32 v[4:5], v[162:163], v[4:5]
	v_mov_b32_e32 v162, v174
	v_mov_b32_e32 v163, v19
	v_pk_add_f32 v[4:5], v[162:163], v[4:5]
	v_pk_mul_f32 v[162:163], v[224:225], s[20:21] op_sel_hi:[1,0]
	v_pk_mul_f32 v[20:21], v[68:69], s[30:31] op_sel_hi:[1,0]
	v_pk_fma_f32 v[152:153], v[208:209], s[18:19], v[162:163] op_sel:[0,0,1] op_sel_hi:[1,0,0]
	v_pk_fma_f32 v[162:163], v[208:209], s[18:19], v[162:163] op_sel:[0,0,1] op_sel_hi:[1,0,0] neg_lo:[0,0,1] neg_hi:[0,0,1]
	v_mov_b32_e32 v144, v152
	v_mov_b32_e32 v145, v163
	v_pk_add_f32 v[4:5], v[144:145], v[4:5]
	ds_write2_b64 v179, v[8:9], v[4:5] offset0:2 offset1:3
	v_pk_mul_f32 v[4:5], v[12:13], s[20:21] op_sel_hi:[1,0]
	v_accvgpr_write_b32 a82, v232
	v_pk_fma_f32 v[8:9], v[10:11], s[18:19], v[4:5] op_sel:[0,0,1] op_sel_hi:[1,0,0]
	v_pk_fma_f32 v[4:5], v[10:11], s[18:19], v[4:5] op_sel:[0,0,1] op_sel_hi:[1,0,0] neg_lo:[0,0,1] neg_hi:[0,0,1]
	v_mov_b32_e32 v144, v8
	v_mov_b32_e32 v145, v5
	v_accvgpr_write_b32 a83, v233
	v_pk_fma_f32 v[232:233], v[14:15], s[12:13], v[20:21] op_sel:[0,0,1] op_sel_hi:[1,0,0]
	v_pk_fma_f32 v[20:21], v[14:15], s[12:13], v[20:21] op_sel:[0,0,1] op_sel_hi:[1,0,0] neg_lo:[0,0,1] neg_hi:[0,0,1]
	v_pk_add_f32 v[144:145], v[128:129], v[144:145]
	v_mov_b32_e32 v22, v232
	v_mov_b32_e32 v23, v21
	v_pk_add_f32 v[22:23], v[22:23], v[144:145]
	v_pk_mul_f32 v[144:145], v[130:131], s[16:17] op_sel_hi:[1,0]
	v_accvgpr_write_b32 a51, v27
	v_accvgpr_write_b32 a50, v26
	;; [unrolled: 1-line block ×4, first 2 shown]
	v_pk_fma_f32 v[24:25], v[70:71], s[0:1], v[144:145] op_sel:[0,0,1] op_sel_hi:[1,0,0]
	v_pk_fma_f32 v[144:145], v[70:71], s[0:1], v[144:145] op_sel:[0,0,1] op_sel_hi:[1,0,0] neg_lo:[0,0,1] neg_hi:[0,0,1]
	v_pk_mul_f32 v[26:27], v[180:181], s[24:25] op_sel_hi:[1,0]
	v_accvgpr_write_b32 a58, v230
	v_mov_b32_e32 v172, v24
	v_mov_b32_e32 v173, v145
	v_accvgpr_write_b32 a59, v231
	v_pk_fma_f32 v[230:231], v[176:177], s[22:23], v[26:27] op_sel:[0,0,1] op_sel_hi:[1,0,0]
	v_pk_fma_f32 v[26:27], v[176:177], s[22:23], v[26:27] op_sel:[0,0,1] op_sel_hi:[1,0,0] neg_lo:[0,0,1] neg_hi:[0,0,1]
	v_pk_add_f32 v[22:23], v[172:173], v[22:23]
	v_mov_b32_e32 v172, v230
	v_mov_b32_e32 v173, v27
	v_pk_add_f32 v[22:23], v[172:173], v[22:23]
	v_pk_mul_f32 v[172:173], v[224:225], s[28:29] op_sel_hi:[1,0]
	v_pk_mul_f32 v[12:13], v[12:13], s[24:25] op_sel_hi:[1,0]
	v_pk_fma_f32 v[28:29], v[208:209], s[8:9], v[172:173] op_sel:[0,0,1] op_sel_hi:[1,0,0]
	v_pk_fma_f32 v[30:31], v[208:209], s[8:9], v[172:173] op_sel:[0,0,1] op_sel_hi:[1,0,0] neg_lo:[0,0,1] neg_hi:[0,0,1]
	v_mov_b32_e32 v172, v28
	v_mov_b32_e32 v173, v31
	v_pk_add_f32 v[22:23], v[172:173], v[22:23]
	v_pk_fma_f32 v[172:173], v[10:11], s[22:23], v[12:13] op_sel:[0,0,1] op_sel_hi:[1,0,0]
	v_pk_fma_f32 v[10:11], v[10:11], s[22:23], v[12:13] op_sel:[0,0,1] op_sel_hi:[1,0,0] neg_lo:[0,0,1] neg_hi:[0,0,1]
	v_pk_mul_f32 v[68:69], v[68:69], s[26:27] op_sel_hi:[1,0]
	v_mov_b32_e32 v12, v172
	v_mov_b32_e32 v13, v11
	v_pk_fma_f32 v[32:33], v[14:15], s[0:1], v[68:69] op_sel:[0,0,1] op_sel_hi:[1,0,0]
	v_pk_fma_f32 v[14:15], v[14:15], s[0:1], v[68:69] op_sel:[0,0,1] op_sel_hi:[1,0,0] neg_lo:[0,0,1] neg_hi:[0,0,1]
	v_pk_add_f32 v[12:13], v[128:129], v[12:13]
	v_mov_b32_e32 v34, v32
	v_mov_b32_e32 v35, v15
	v_pk_add_f32 v[12:13], v[34:35], v[12:13]
	v_pk_mul_f32 v[34:35], v[130:131], s[20:21] op_sel_hi:[1,0]
	v_mov_b32_e32 v11, v173
	v_pk_fma_f32 v[68:69], v[70:71], s[18:19], v[34:35] op_sel:[0,0,1] op_sel_hi:[1,0,0]
	v_pk_fma_f32 v[34:35], v[70:71], s[18:19], v[34:35] op_sel:[0,0,1] op_sel_hi:[1,0,0] neg_lo:[0,0,1] neg_hi:[0,0,1]
	v_mov_b32_e32 v70, v68
	v_mov_b32_e32 v71, v35
	v_pk_add_f32 v[12:13], v[70:71], v[12:13]
	v_pk_mul_f32 v[70:71], v[180:181], s[28:29] op_sel_hi:[1,0]
	v_mov_b32_e32 v5, v9
	v_pk_fma_f32 v[130:131], v[176:177], s[8:9], v[70:71] op_sel:[0,0,1] op_sel_hi:[1,0,0]
	v_pk_fma_f32 v[70:71], v[176:177], s[8:9], v[70:71] op_sel:[0,0,1] op_sel_hi:[1,0,0] neg_lo:[0,0,1] neg_hi:[0,0,1]
	v_mov_b32_e32 v176, v130
	v_mov_b32_e32 v177, v71
	v_pk_add_f32 v[10:11], v[128:129], v[10:11]
	v_mov_b32_e32 v15, v33
	v_pk_add_f32 v[4:5], v[128:129], v[4:5]
	;; [unrolled: 2-line block ×3, first 2 shown]
	v_pk_mul_f32 v[176:177], v[224:225], s[14:15] op_sel_hi:[1,0]
	v_pk_add_f32 v[10:11], v[14:15], v[10:11]
	v_mov_b32_e32 v35, v69
	v_pk_add_f32 v[4:5], v[20:21], v[4:5]
	v_mov_b32_e32 v145, v25
	v_pk_fma_f32 v[180:181], v[208:209], s[12:13], v[176:177] op_sel:[0,0,1] op_sel_hi:[1,0,0]
	v_pk_fma_f32 v[176:177], v[208:209], s[12:13], v[176:177] op_sel:[0,0,1] op_sel_hi:[1,0,0] neg_lo:[0,0,1] neg_hi:[0,0,1]
	v_pk_add_f32 v[10:11], v[34:35], v[10:11]
	v_mov_b32_e32 v71, v131
	v_pk_add_f32 v[4:5], v[144:145], v[4:5]
	v_mov_b32_e32 v27, v231
	v_mov_b32_e32 v209, v177
	v_pk_add_f32 v[10:11], v[70:71], v[10:11]
	v_mov_b32_e32 v177, v181
	v_pk_add_f32 v[4:5], v[26:27], v[4:5]
	;; [unrolled: 2-line block ×3, first 2 shown]
	v_pk_add_f32 v[4:5], v[30:31], v[4:5]
	v_mov_b32_e32 v147, v159
	v_mov_b32_e32 v1, v3
	ds_write2_b64 v179, v[10:11], v[4:5] offset0:6 offset1:7
	v_pk_add_f32 v[4:5], v[128:129], v[146:147]
	v_mov_b32_e32 v135, v161
	v_pk_add_f32 v[0:1], v[128:129], v[0:1]
	v_mov_b32_e32 v133, v7
	;; [unrolled: 2-line block ×8, first 2 shown]
	v_pk_add_f32 v[4:5], v[162:163], v[4:5]
	v_pk_add_f32 v[0:1], v[156:157], v[0:1]
	v_accvgpr_read_b32 v3, a121
	ds_write2_b64 v179, v[4:5], v[0:1] offset0:8 offset1:9
	v_pk_add_f32 v[0:1], v[128:129], v[2:3]
	v_accvgpr_read_b32 v7, a123
	v_mov_b32_e32 v208, v180
	v_pk_add_f32 v[0:1], v[6:7], v[0:1]
	v_accvgpr_read_b32 v227, a125
	v_pk_add_f32 v[12:13], v[208:209], v[12:13]
	v_pk_add_f32 v[0:1], v[226:227], v[0:1]
	v_accvgpr_read_b32 v137, a127
	v_accvgpr_read_b32 v225, a107
	;; [unrolled: 1-line block ×3, first 2 shown]
	ds_write2_b64 v179, v[22:23], v[12:13] offset0:4 offset1:5
	v_accvgpr_read_b32 v233, a83
	v_accvgpr_read_b32 v20, a52
	;; [unrolled: 1-line block ×5, first 2 shown]
	v_pk_add_f32 v[0:1], v[136:137], v[0:1]
	v_accvgpr_read_b32 v141, a129
	v_accvgpr_read_b32 v224, a106
	v_accvgpr_read_b32 v208, a56
	v_accvgpr_read_b32 v232, a82
	v_accvgpr_read_b32 v21, a53
	v_accvgpr_read_b32 v22, a54
	v_accvgpr_read_b32 v23, a55
	v_accvgpr_read_b32 v230, a58
	v_accvgpr_read_b32 v25, a49
	v_accvgpr_read_b32 v26, a50
	v_accvgpr_read_b32 v27, a51
	v_accvgpr_read_b32 v17, a67
	v_accvgpr_read_b32 v18, a68
	v_accvgpr_read_b32 v19, a69
	v_pk_add_f32 v[0:1], v[140:141], v[0:1]
	ds_write_b64 v179, v[0:1] offset:80
.LBB0_13:
	s_or_b64 exec, exec, s[38:39]
	v_add_u32_e32 v128, 0x800, v178
	s_waitcnt lgkmcnt(0)
	; wave barrier
	s_waitcnt lgkmcnt(0)
	ds_read2_b64 v[0:3], v128 offset0:184 offset1:239
	v_add_u32_e32 v129, 0x1c00, v178
	v_accvgpr_read_b32 v32, a76
	v_accvgpr_read_b32 v34, a78
	;; [unrolled: 1-line block ×3, first 2 shown]
	s_waitcnt lgkmcnt(0)
	v_pk_mul_f32 v[6:7], v[48:49], v[2:3]
	v_accvgpr_read_b32 v139, a73
	v_pk_fma_f32 v[4:5], v[202:203], v[2:3], v[6:7] op_sel:[0,0,1] op_sel_hi:[1,1,0]
	v_pk_fma_f32 v[48:49], v[202:203], v[2:3], v[6:7] op_sel:[0,0,1] op_sel_hi:[1,1,0] neg_lo:[0,0,1] neg_hi:[0,0,1]
	v_pk_mul_f32 v[2:3], v[40:41], v[0:1]
	v_accvgpr_read_b32 v138, a72
	v_pk_fma_f32 v[8:9], v[200:201], v[0:1], v[2:3] op_sel:[0,0,1] op_sel_hi:[1,1,0]
	v_pk_fma_f32 v[40:41], v[200:201], v[0:1], v[2:3] op_sel:[0,0,1] op_sel_hi:[1,1,0] neg_lo:[0,0,1] neg_hi:[0,0,1]
	ds_read2_b64 v[0:3], v129 offset0:94 offset1:149
	v_accvgpr_read_b32 v33, a77
	v_add_u32_e32 v48, 0x1800, v178
	v_accvgpr_read_b32 v137, a71
	v_accvgpr_read_b32 v136, a70
	s_waitcnt lgkmcnt(0)
	v_pk_mul_f32 v[10:11], v[44:45], v[2:3]
	v_accvgpr_read_b32 v153, a65
	v_pk_fma_f32 v[44:45], v[192:193], v[2:3], v[10:11] op_sel:[0,0,1] op_sel_hi:[1,1,0] neg_lo:[0,0,1] neg_hi:[0,0,1]
	v_pk_fma_f32 v[6:7], v[192:193], v[2:3], v[10:11] op_sel:[0,0,1] op_sel_hi:[1,1,0]
	v_pk_mul_f32 v[2:3], v[36:37], v[0:1]
	v_add_u32_e32 v44, 0x1000, v178
	v_pk_fma_f32 v[10:11], v[198:199], v[0:1], v[2:3] op_sel:[0,0,1] op_sel_hi:[1,1,0]
	v_pk_fma_f32 v[68:69], v[198:199], v[0:1], v[2:3] op_sel:[0,0,1] op_sel_hi:[1,1,0] neg_lo:[0,0,1] neg_hi:[0,0,1]
	ds_read2_b64 v[0:3], v44 offset0:148 offset1:203
	v_accvgpr_read_b32 v151, a63
	v_accvgpr_read_b32 v150, a62
	;; [unrolled: 1-line block ×3, first 2 shown]
	s_mov_b32 s8, 0x3f737871
	s_waitcnt lgkmcnt(0)
	v_pk_mul_f32 v[12:13], v[42:43], v[2:3]
	s_mov_b32 s12, 0x3f167918
	v_pk_fma_f32 v[42:43], v[194:195], v[2:3], v[12:13] op_sel:[0,0,1] op_sel_hi:[1,1,0] neg_lo:[0,0,1] neg_hi:[0,0,1]
	v_pk_fma_f32 v[36:37], v[194:195], v[2:3], v[12:13] op_sel:[0,0,1] op_sel_hi:[1,1,0]
	v_pk_mul_f32 v[2:3], v[34:35], v[0:1]
	v_add_u32_e32 v42, 0x2000, v178
	v_pk_fma_f32 v[70:71], v[196:197], v[0:1], v[2:3] op_sel:[0,0,1] op_sel_hi:[1,1,0]
	v_pk_fma_f32 v[12:13], v[196:197], v[0:1], v[2:3] op_sel:[0,0,1] op_sel_hi:[1,1,0] neg_lo:[0,0,1] neg_hi:[0,0,1]
	ds_read2_b64 v[0:3], v42 offset0:186 offset1:241
	s_mov_b32 s0, 0x3e9e377a
	v_accvgpr_read_b32 v5, a75
	v_mov_b32_e32 v71, v13
	v_accvgpr_read_b32 v40, a61
	s_waitcnt lgkmcnt(0)
	v_pk_mul_f32 v[14:15], v[38:39], v[2:3]
	v_mov_b32_e32 v9, v41
	v_pk_fma_f32 v[34:35], v[190:191], v[2:3], v[14:15] op_sel:[0,0,1] op_sel_hi:[1,1,0]
	v_pk_fma_f32 v[38:39], v[190:191], v[2:3], v[14:15] op_sel:[0,0,1] op_sel_hi:[1,1,0] neg_lo:[0,0,1] neg_hi:[0,0,1]
	v_pk_mul_f32 v[2:3], v[138:139], v[0:1]
	v_mov_b32_e32 v35, v39
	v_pk_fma_f32 v[30:31], v[222:223], v[0:1], v[2:3] op_sel:[0,0,1] op_sel_hi:[1,1,0]
	v_pk_fma_f32 v[28:29], v[222:223], v[0:1], v[2:3] op_sel:[0,0,1] op_sel_hi:[1,1,0] neg_lo:[0,0,1] neg_hi:[0,0,1]
	ds_read2_b64 v[0:3], v128 offset0:74 offset1:129
	v_mov_b32_e32 v31, v29
	v_mov_b32_e32 v37, v43
	;; [unrolled: 1-line block ×4, first 2 shown]
	s_waitcnt lgkmcnt(0)
	v_pk_mul_f32 v[14:15], v[32:33], v[2:3]
	s_nop 0
	v_pk_fma_f32 v[32:33], v[188:189], v[2:3], v[14:15] op_sel:[0,0,1] op_sel_hi:[1,1,0]
	v_pk_fma_f32 v[130:131], v[188:189], v[2:3], v[14:15] op_sel:[0,0,1] op_sel_hi:[1,1,0] neg_lo:[0,0,1] neg_hi:[0,0,1]
	v_pk_mul_f32 v[2:3], v[16:17], v[0:1]
	v_mov_b32_e32 v33, v131
	v_pk_fma_f32 v[132:133], v[218:219], v[0:1], v[2:3] op_sel:[0,0,1] op_sel_hi:[1,1,0]
	v_pk_fma_f32 v[134:135], v[218:219], v[0:1], v[2:3] op_sel:[0,0,1] op_sel_hi:[1,1,0] neg_lo:[0,0,1] neg_hi:[0,0,1]
	ds_read2_b64 v[0:3], v48 offset0:112 offset1:167
	v_mov_b32_e32 v133, v135
	v_pk_add_f32 v[28:29], v[32:33], v[30:31] neg_lo:[0,1] neg_hi:[0,1]
	v_pk_add_f32 v[38:39], v[70:71], v[32:33] neg_lo:[0,1] neg_hi:[0,1]
	s_waitcnt lgkmcnt(0)
	v_pk_mul_f32 v[14:15], v[136:137], v[2:3]
	s_nop 0
	v_pk_fma_f32 v[136:137], v[186:187], v[2:3], v[14:15] op_sel:[0,0,1] op_sel_hi:[1,1,0]
	v_pk_fma_f32 v[138:139], v[186:187], v[2:3], v[14:15] op_sel:[0,0,1] op_sel_hi:[1,1,0] neg_lo:[0,0,1] neg_hi:[0,0,1]
	v_pk_mul_f32 v[2:3], v[150:151], v[0:1]
	v_mov_b32_e32 v137, v139
	v_pk_fma_f32 v[140:141], v[216:217], v[0:1], v[2:3] op_sel:[0,0,1] op_sel_hi:[1,1,0]
	v_pk_fma_f32 v[142:143], v[216:217], v[0:1], v[2:3] op_sel:[0,0,1] op_sel_hi:[1,1,0] neg_lo:[0,0,1] neg_hi:[0,0,1]
	ds_read2_b64 v[0:3], v44 offset0:38 offset1:93
	v_mov_b32_e32 v141, v143
	v_pk_add_f32 v[12:13], v[30:31], v[136:137] neg_lo:[0,1] neg_hi:[0,1]
	v_pk_add_f32 v[130:131], v[70:71], v[136:137] neg_lo:[0,1] neg_hi:[0,1]
	v_accvgpr_read_b32 v138, a28
	s_waitcnt lgkmcnt(0)
	v_pk_mul_f32 v[14:15], v[18:19], v[2:3]
	s_nop 0
	v_pk_fma_f32 v[144:145], v[210:211], v[2:3], v[14:15] op_sel:[0,0,1] op_sel_hi:[1,1,0]
	v_pk_fma_f32 v[146:147], v[210:211], v[2:3], v[14:15] op_sel:[0,0,1] op_sel_hi:[1,1,0] neg_lo:[0,0,1] neg_hi:[0,0,1]
	v_pk_mul_f32 v[2:3], v[22:23], v[0:1]
	v_mov_b64_e32 v[22:23], v[26:27]
	v_pk_fma_f32 v[148:149], v[220:221], v[0:1], v[2:3] op_sel:[0,0,1] op_sel_hi:[1,1,0]
	v_pk_fma_f32 v[16:17], v[220:221], v[0:1], v[2:3] op_sel:[0,0,1] op_sel_hi:[1,1,0] neg_lo:[0,0,1] neg_hi:[0,0,1]
	ds_read2_b64 v[0:3], v48 offset0:2 offset1:57
	v_mov_b64_e32 v[26:27], v[20:21]
	v_mov_b32_e32 v149, v17
	v_mov_b32_e32 v145, v147
	s_waitcnt lgkmcnt(0)
	v_pk_mul_f32 v[18:19], v[50:51], v[0:1]
	s_nop 0
	v_pk_fma_f32 v[14:15], v[228:229], v[0:1], v[18:19] op_sel:[0,0,1] op_sel_hi:[1,1,0]
	v_pk_fma_f32 v[50:51], v[228:229], v[0:1], v[18:19] op_sel:[0,0,1] op_sel_hi:[1,1,0] neg_lo:[0,0,1] neg_hi:[0,0,1]
	v_pk_mul_f32 v[0:1], v[24:25], v[2:3]
	v_mov_b32_e32 v15, v51
	v_pk_fma_f32 v[150:151], v[214:215], v[2:3], v[0:1] op_sel:[0,0,1] op_sel_hi:[1,1,0]
	v_pk_fma_f32 v[18:19], v[214:215], v[2:3], v[0:1] op_sel:[0,0,1] op_sel_hi:[1,1,0] neg_lo:[0,0,1] neg_hi:[0,0,1]
	ds_read2_b64 v[0:3], v42 offset0:76 offset1:131
	v_mov_b32_e32 v151, v19
	v_pk_add_f32 v[172:173], v[148:149], v[150:151] neg_lo:[0,1] neg_hi:[0,1]
	s_waitcnt lgkmcnt(0)
	v_pk_mul_f32 v[20:21], v[152:153], v[2:3]
	s_nop 0
	v_pk_fma_f32 v[152:153], v[206:207], v[2:3], v[20:21] op_sel:[0,0,1] op_sel_hi:[1,1,0]
	v_pk_fma_f32 v[154:155], v[206:207], v[2:3], v[20:21] op_sel:[0,0,1] op_sel_hi:[1,1,0] neg_lo:[0,0,1] neg_hi:[0,0,1]
	v_pk_mul_f32 v[2:3], v[22:23], v[0:1]
	v_add_u32_e32 v21, 0x400, v178
	v_pk_fma_f32 v[156:157], v[212:213], v[0:1], v[2:3] op_sel:[0,0,1] op_sel_hi:[1,1,0]
	v_pk_fma_f32 v[24:25], v[212:213], v[0:1], v[2:3] op_sel:[0,0,1] op_sel_hi:[1,1,0] neg_lo:[0,0,1] neg_hi:[0,0,1]
	ds_read_b64 v[0:1], v178 offset:10560
	v_mov_b32_e32 v157, v25
	v_pk_add_f32 v[16:17], v[156:157], v[150:151] neg_lo:[0,1] neg_hi:[0,1]
	v_pk_add_f32 v[24:25], v[148:149], v[150:151]
	v_mov_b32_e32 v153, v155
	s_waitcnt lgkmcnt(0)
	v_pk_mul_f32 v[2:3], v[46:47], v[0:1]
	v_pk_add_f32 v[134:135], v[132:133], v[152:153] neg_lo:[0,1] neg_hi:[0,1]
	v_pk_fma_f32 v[22:23], v[182:183], v[0:1], v[2:3] op_sel:[0,0,1] op_sel_hi:[1,1,0]
	v_pk_fma_f32 v[46:47], v[182:183], v[0:1], v[2:3] op_sel:[0,0,1] op_sel_hi:[1,1,0] neg_lo:[0,0,1] neg_hi:[0,0,1]
	ds_read2_b64 v[0:3], v21 offset0:92 offset1:147
	v_pk_mul_f32 v[142:143], v[134:135], s[8:9] op_sel_hi:[1,0]
	v_pk_mul_f32 v[134:135], v[134:135], s[12:13] op_sel_hi:[1,0]
	v_mov_b32_e32 v23, v47
	v_pk_add_f32 v[46:47], v[22:23], v[6:7] neg_lo:[0,1] neg_hi:[0,1]
	s_waitcnt lgkmcnt(0)
	v_pk_mul_f32 v[26:27], v[26:27], v[2:3]
	s_nop 0
	v_pk_fma_f32 v[158:159], v[204:205], v[2:3], v[26:27] op_sel:[0,0,1] op_sel_hi:[1,1,0]
	v_pk_fma_f32 v[2:3], v[204:205], v[2:3], v[26:27] op_sel:[0,0,1] op_sel_hi:[1,1,0] neg_lo:[0,0,1] neg_hi:[0,0,1]
	s_nop 0
	v_mov_b32_e32 v159, v3
	v_pk_add_f32 v[2:3], v[158:159], v[148:149] neg_lo:[0,1] neg_hi:[0,1]
	v_pk_add_f32 v[160:161], v[158:159], v[156:157] neg_lo:[0,1] neg_hi:[0,1]
	v_pk_add_f32 v[2:3], v[2:3], v[16:17]
	ds_read2_b64 v[16:19], v178 offset1:55
	v_pk_mul_f32 v[26:27], v[160:161], s[8:9] op_sel_hi:[1,0]
	s_waitcnt lgkmcnt(0)
	v_pk_fma_f32 v[24:25], v[24:25], 0.5, v[16:17] op_sel_hi:[1,0,1] neg_lo:[1,0,0] neg_hi:[1,0,0]
	s_nop 0
	v_pk_add_f32 v[162:163], v[24:25], v[26:27] op_sel:[0,1] op_sel_hi:[1,0] neg_lo:[0,1] neg_hi:[0,1]
	v_pk_add_f32 v[24:25], v[24:25], v[26:27] op_sel:[0,1] op_sel_hi:[1,0]
	v_pk_mul_f32 v[26:27], v[172:173], s[12:13] op_sel_hi:[1,0]
	s_nop 0
	v_pk_add_f32 v[174:175], v[24:25], v[26:27] op_sel:[0,1] op_sel_hi:[1,0]
	v_pk_add_f32 v[24:25], v[16:17], v[158:159]
	v_pk_add_f32 v[162:163], v[162:163], v[26:27] op_sel:[0,1] op_sel_hi:[1,0] neg_lo:[0,1] neg_hi:[0,1]
	v_pk_add_f32 v[24:25], v[24:25], v[148:149]
	v_pk_add_f32 v[148:149], v[148:149], v[158:159] neg_lo:[0,1] neg_hi:[0,1]
	v_pk_add_f32 v[24:25], v[24:25], v[150:151]
	v_pk_add_f32 v[158:159], v[158:159], v[156:157]
	v_pk_add_f32 v[150:151], v[150:151], v[156:157] neg_lo:[0,1] neg_hi:[0,1]
	v_pk_fma_f32 v[16:17], v[158:159], 0.5, v[16:17] op_sel_hi:[1,0,1] neg_lo:[1,0,0] neg_hi:[1,0,0]
	v_pk_add_f32 v[148:149], v[148:149], v[150:151]
	v_pk_mul_f32 v[150:151], v[172:173], s[8:9] op_sel_hi:[1,0]
	v_pk_add_f32 v[176:177], v[24:25], v[156:157]
	v_pk_add_f32 v[156:157], v[16:17], v[150:151] op_sel:[0,1] op_sel_hi:[1,0]
	v_pk_add_f32 v[16:17], v[16:17], v[150:151] op_sel:[0,1] op_sel_hi:[1,0] neg_lo:[0,1] neg_hi:[0,1]
	v_pk_mul_f32 v[150:151], v[160:161], s[12:13] op_sel_hi:[1,0]
	v_mov_b32_e32 v180, v162
	v_pk_add_f32 v[16:17], v[16:17], v[150:151] op_sel:[0,1] op_sel_hi:[1,0]
	v_pk_add_f32 v[150:151], v[156:157], v[150:151] op_sel:[0,1] op_sel_hi:[1,0] neg_lo:[0,1] neg_hi:[0,1]
	v_mov_b32_e32 v181, v175
	v_mov_b32_e32 v156, v150
	;; [unrolled: 1-line block ×5, first 2 shown]
	v_pk_fma_f32 v[180:181], v[2:3], s[0:1], v[180:181] op_sel_hi:[1,0,1]
	v_pk_fma_f32 v[150:151], v[148:149], s[0:1], v[156:157] op_sel_hi:[1,0,1]
	;; [unrolled: 1-line block ×4, first 2 shown]
	ds_read2_b64 v[24:27], v178 offset0:110 offset1:165
	s_waitcnt lgkmcnt(0)
	; wave barrier
	s_waitcnt lgkmcnt(0)
	ds_write2_b64 v5, v[150:151], v[16:17] offset0:22 offset1:33
	ds_write_b64 v5, v[2:3] offset:352
	v_pk_add_f32 v[2:3], v[132:133], v[144:145] neg_lo:[0,1] neg_hi:[0,1]
	v_pk_add_f32 v[16:17], v[152:153], v[140:141] neg_lo:[0,1] neg_hi:[0,1]
	ds_write2_b64 v5, v[176:177], v[180:181] offset1:11
	v_pk_add_f32 v[2:3], v[2:3], v[16:17]
	v_pk_add_f32 v[16:17], v[144:145], v[140:141]
	v_accvgpr_read_b32 v5, a74
	v_pk_fma_f32 v[16:17], v[16:17], 0.5, v[18:19] op_sel_hi:[1,0,1] neg_lo:[1,0,0] neg_hi:[1,0,0]
	s_nop 0
	v_pk_add_f32 v[146:147], v[16:17], v[142:143] op_sel:[0,1] op_sel_hi:[1,0] neg_lo:[0,1] neg_hi:[0,1]
	v_pk_add_f32 v[16:17], v[16:17], v[142:143] op_sel:[0,1] op_sel_hi:[1,0]
	v_pk_add_f32 v[142:143], v[144:145], v[140:141] neg_lo:[0,1] neg_hi:[0,1]
	s_nop 0
	v_pk_mul_f32 v[148:149], v[142:143], s[12:13] op_sel_hi:[1,0]
	s_nop 0
	v_pk_add_f32 v[16:17], v[16:17], v[148:149] op_sel:[0,1] op_sel_hi:[1,0]
	v_pk_add_f32 v[146:147], v[146:147], v[148:149] op_sel:[0,1] op_sel_hi:[1,0] neg_lo:[0,1] neg_hi:[0,1]
	v_pk_add_f32 v[148:149], v[18:19], v[132:133]
	v_mov_b32_e32 v150, v146
	v_pk_add_f32 v[148:149], v[148:149], v[144:145]
	v_mov_b32_e32 v151, v17
	v_pk_add_f32 v[148:149], v[148:149], v[140:141]
	v_pk_fma_f32 v[150:151], v[2:3], s[0:1], v[150:151] op_sel_hi:[1,0,1]
	v_pk_add_f32 v[148:149], v[148:149], v[152:153]
	ds_write2_b64 v5, v[148:149], v[150:151] offset1:11
	v_pk_add_f32 v[148:149], v[132:133], v[152:153]
	v_pk_add_f32 v[132:133], v[144:145], v[132:133] neg_lo:[0,1] neg_hi:[0,1]
	v_pk_add_f32 v[140:141], v[140:141], v[152:153] neg_lo:[0,1] neg_hi:[0,1]
	v_pk_fma_f32 v[18:19], v[148:149], 0.5, v[18:19] op_sel_hi:[1,0,1] neg_lo:[1,0,0] neg_hi:[1,0,0]
	v_pk_add_f32 v[132:133], v[132:133], v[140:141]
	v_pk_mul_f32 v[140:141], v[142:143], s[8:9] op_sel_hi:[1,0]
	v_mov_b32_e32 v17, v147
	v_pk_add_f32 v[142:143], v[18:19], v[140:141] op_sel:[0,1] op_sel_hi:[1,0]
	v_pk_add_f32 v[18:19], v[18:19], v[140:141] op_sel:[0,1] op_sel_hi:[1,0] neg_lo:[0,1] neg_hi:[0,1]
	v_pk_fma_f32 v[2:3], v[2:3], s[0:1], v[16:17] op_sel_hi:[1,0,1]
	v_pk_add_f32 v[18:19], v[18:19], v[134:135] op_sel:[0,1] op_sel_hi:[1,0]
	v_pk_add_f32 v[134:135], v[142:143], v[134:135] op_sel:[0,1] op_sel_hi:[1,0] neg_lo:[0,1] neg_hi:[0,1]
	ds_write_b64 v5, v[2:3] offset:352
	v_pk_add_f32 v[2:3], v[32:33], v[70:71] neg_lo:[0,1] neg_hi:[0,1]
	v_mov_b32_e32 v140, v134
	v_mov_b32_e32 v141, v19
	;; [unrolled: 1-line block ×3, first 2 shown]
	v_pk_add_f32 v[2:3], v[2:3], v[12:13]
	v_pk_add_f32 v[12:13], v[70:71], v[136:137]
	v_pk_fma_f32 v[134:135], v[132:133], s[0:1], v[140:141] op_sel_hi:[1,0,1]
	v_pk_fma_f32 v[18:19], v[132:133], s[0:1], v[18:19] op_sel_hi:[1,0,1]
	v_pk_fma_f32 v[12:13], v[12:13], 0.5, v[24:25] op_sel_hi:[1,0,1] neg_lo:[1,0,0] neg_hi:[1,0,0]
	v_pk_mul_f32 v[16:17], v[28:29], s[8:9] op_sel_hi:[1,0]
	ds_write2_b64 v5, v[134:135], v[18:19] offset0:22 offset1:33
	v_pk_add_f32 v[18:19], v[12:13], v[16:17] op_sel:[0,1] op_sel_hi:[1,0] neg_lo:[0,1] neg_hi:[0,1]
	v_pk_add_f32 v[12:13], v[12:13], v[16:17] op_sel:[0,1] op_sel_hi:[1,0]
	v_pk_mul_f32 v[16:17], v[130:131], s[12:13] op_sel_hi:[1,0]
	v_pk_mul_f32 v[28:29], v[28:29], s[12:13] op_sel_hi:[1,0]
	v_pk_add_f32 v[12:13], v[12:13], v[16:17] op_sel:[0,1] op_sel_hi:[1,0]
	v_pk_add_f32 v[132:133], v[18:19], v[16:17] op_sel:[0,1] op_sel_hi:[1,0] neg_lo:[0,1] neg_hi:[0,1]
	v_pk_add_f32 v[16:17], v[24:25], v[32:33]
	v_pk_add_f32 v[32:33], v[32:33], v[30:31]
	;; [unrolled: 1-line block ×3, first 2 shown]
	v_pk_fma_f32 v[24:25], v[32:33], 0.5, v[24:25] op_sel_hi:[1,0,1] neg_lo:[1,0,0] neg_hi:[1,0,0]
	v_pk_add_f32 v[16:17], v[16:17], v[136:137]
	v_pk_mul_f32 v[32:33], v[130:131], s[8:9] op_sel_hi:[1,0]
	v_pk_add_f32 v[16:17], v[16:17], v[30:31]
	v_pk_add_f32 v[30:31], v[136:137], v[30:31] neg_lo:[0,1] neg_hi:[0,1]
	v_mov_b32_e32 v18, v132
	v_pk_add_f32 v[30:31], v[38:39], v[30:31]
	v_pk_add_f32 v[38:39], v[24:25], v[32:33] op_sel:[0,1] op_sel_hi:[1,0]
	v_pk_add_f32 v[24:25], v[24:25], v[32:33] op_sel:[0,1] op_sel_hi:[1,0] neg_lo:[0,1] neg_hi:[0,1]
	v_mov_b32_e32 v19, v13
	v_pk_add_f32 v[24:25], v[24:25], v[28:29] op_sel:[0,1] op_sel_hi:[1,0]
	v_pk_add_f32 v[28:29], v[38:39], v[28:29] op_sel:[0,1] op_sel_hi:[1,0] neg_lo:[0,1] neg_hi:[0,1]
	v_mov_b32_e32 v13, v133
	v_pk_fma_f32 v[18:19], v[2:3], s[0:1], v[18:19] op_sel_hi:[1,0,1]
	v_mov_b32_e32 v38, v28
	v_mov_b32_e32 v39, v25
	;; [unrolled: 1-line block ×3, first 2 shown]
	v_pk_fma_f32 v[2:3], v[2:3], s[0:1], v[12:13] op_sel_hi:[1,0,1]
	v_pk_fma_f32 v[38:39], v[30:31], s[0:1], v[38:39] op_sel_hi:[1,0,1]
	;; [unrolled: 1-line block ×3, first 2 shown]
	ds_write_b64 v40, v[2:3] offset:352
	v_pk_add_f32 v[2:3], v[36:37], v[10:11]
	v_pk_add_f32 v[12:13], v[8:9], v[34:35] neg_lo:[0,1] neg_hi:[0,1]
	ds_write2_b64 v40, v[16:17], v[18:19] offset1:11
	ds_write2_b64 v40, v[38:39], v[24:25] offset0:22 offset1:33
	v_pk_fma_f32 v[2:3], v[2:3], 0.5, v[26:27] op_sel_hi:[1,0,1] neg_lo:[1,0,0] neg_hi:[1,0,0]
	v_pk_mul_f32 v[24:25], v[12:13], s[8:9] op_sel_hi:[1,0]
	v_pk_add_f32 v[30:31], v[36:37], v[10:11] neg_lo:[0,1] neg_hi:[0,1]
	v_pk_add_f32 v[38:39], v[8:9], v[36:37] neg_lo:[0,1] neg_hi:[0,1]
	v_pk_add_f32 v[40:41], v[34:35], v[10:11] neg_lo:[0,1] neg_hi:[0,1]
	v_pk_add_f32 v[28:29], v[26:27], v[8:9]
	v_pk_add_f32 v[38:39], v[38:39], v[40:41]
	v_pk_add_f32 v[40:41], v[2:3], v[24:25] op_sel:[0,1] op_sel_hi:[1,0] neg_lo:[0,1] neg_hi:[0,1]
	v_pk_add_f32 v[2:3], v[2:3], v[24:25] op_sel:[0,1] op_sel_hi:[1,0]
	v_pk_mul_f32 v[24:25], v[30:31], s[12:13] op_sel_hi:[1,0]
	v_pk_add_f32 v[28:29], v[28:29], v[36:37]
	v_pk_add_f32 v[2:3], v[2:3], v[24:25] op_sel:[0,1] op_sel_hi:[1,0]
	v_pk_add_f32 v[24:25], v[40:41], v[24:25] op_sel:[0,1] op_sel_hi:[1,0] neg_lo:[0,1] neg_hi:[0,1]
	v_mov_b32_e32 v16, s10
	v_mov_b32_e32 v17, s11
	v_mad_u64_u32 v[18:19], s[10:11], s6, v138, 0
	v_pk_add_f32 v[28:29], v[28:29], v[10:11]
	v_mov_b32_e32 v40, v24
	v_mov_b32_e32 v41, v3
	;; [unrolled: 1-line block ×3, first 2 shown]
	v_pk_add_f32 v[28:29], v[28:29], v[34:35]
	v_pk_fma_f32 v[40:41], v[38:39], s[0:1], v[40:41] op_sel_hi:[1,0,1]
	v_accvgpr_read_b32 v19, a60
	ds_write2_b64 v19, v[28:29], v[40:41] offset1:11
	v_pk_add_f32 v[40:41], v[8:9], v[34:35]
	v_pk_add_f32 v[8:9], v[36:37], v[8:9] neg_lo:[0,1] neg_hi:[0,1]
	v_pk_add_f32 v[10:11], v[10:11], v[34:35] neg_lo:[0,1] neg_hi:[0,1]
	v_mov_b32_e32 v5, v49
	v_pk_add_f32 v[32:33], v[14:15], v[6:7]
	v_pk_fma_f32 v[26:27], v[40:41], 0.5, v[26:27] op_sel_hi:[1,0,1] neg_lo:[1,0,0] neg_hi:[1,0,0]
	v_pk_add_f32 v[8:9], v[8:9], v[10:11]
	v_pk_mul_f32 v[10:11], v[30:31], s[8:9] op_sel_hi:[1,0]
	v_mov_b32_e32 v3, v25
	v_pk_fma_f32 v[32:33], v[32:33], 0.5, v[0:1] op_sel_hi:[1,0,1] neg_lo:[1,0,0] neg_hi:[1,0,0]
	v_pk_add_f32 v[28:29], v[4:5], v[22:23] neg_lo:[0,1] neg_hi:[0,1]
	v_pk_add_f32 v[40:41], v[4:5], v[14:15] neg_lo:[0,1] neg_hi:[0,1]
	v_pk_mul_f32 v[12:13], v[12:13], s[12:13] op_sel_hi:[1,0]
	v_pk_add_f32 v[30:31], v[26:27], v[10:11] op_sel:[0,1] op_sel_hi:[1,0]
	v_pk_add_f32 v[10:11], v[26:27], v[10:11] op_sel:[0,1] op_sel_hi:[1,0] neg_lo:[0,1] neg_hi:[0,1]
	v_pk_fma_f32 v[2:3], v[38:39], s[0:1], v[2:3] op_sel_hi:[1,0,1]
	v_pk_add_f32 v[40:41], v[40:41], v[46:47]
	v_pk_add_f32 v[46:47], v[14:15], v[6:7] neg_lo:[0,1] neg_hi:[0,1]
	v_pk_fma_f32 v[36:37], v[28:29], s[8:9], v[32:33] op_sel:[1,0,0] op_sel_hi:[0,0,1]
	v_pk_fma_f32 v[32:33], v[28:29], s[8:9], v[32:33] op_sel:[1,0,0] op_sel_hi:[0,0,1] neg_lo:[1,0,0] neg_hi:[1,0,0]
	v_pk_add_f32 v[10:11], v[10:11], v[12:13] op_sel:[0,1] op_sel_hi:[1,0]
	v_pk_add_f32 v[12:13], v[30:31], v[12:13] op_sel:[0,1] op_sel_hi:[1,0] neg_lo:[0,1] neg_hi:[0,1]
	ds_write_b64 v19, v[2:3] offset:352
	v_pk_add_f32 v[2:3], v[0:1], v[4:5]
	v_pk_fma_f32 v[32:33], v[46:47], s[12:13], v[32:33] op_sel:[1,0,0] op_sel_hi:[0,0,1] neg_lo:[1,0,0] neg_hi:[1,0,0]
	v_pk_fma_f32 v[36:37], v[46:47], s[12:13], v[36:37] op_sel:[1,0,0] op_sel_hi:[0,0,1]
	v_mov_b32_e32 v26, v12
	v_mov_b32_e32 v27, v11
	;; [unrolled: 1-line block ×3, first 2 shown]
	v_pk_add_f32 v[2:3], v[2:3], v[14:15]
	v_mov_b32_e32 v35, v33
	v_pk_fma_f32 v[26:27], v[8:9], s[0:1], v[26:27] op_sel_hi:[1,0,1]
	v_pk_fma_f32 v[8:9], v[8:9], s[0:1], v[10:11] op_sel_hi:[1,0,1]
	v_pk_add_f32 v[2:3], v[2:3], v[6:7]
	v_mov_b32_e32 v33, v37
	ds_write2_b64 v19, v[26:27], v[8:9] offset0:22 offset1:33
	v_pk_add_f32 v[2:3], v[2:3], v[22:23]
	v_pk_fma_f32 v[8:9], v[40:41], s[0:1], v[32:33] op_sel_hi:[1,0,1]
	v_accvgpr_read_b32 v10, a29
	ds_write2_b64 v10, v[2:3], v[8:9] offset1:11
	v_pk_add_f32 v[2:3], v[4:5], v[22:23]
	v_mov_b32_e32 v34, v36
	v_pk_fma_f32 v[0:1], v[2:3], 0.5, v[0:1] op_sel_hi:[1,0,1] neg_lo:[1,0,0] neg_hi:[1,0,0]
	v_pk_add_f32 v[2:3], v[14:15], v[4:5] neg_lo:[0,1] neg_hi:[0,1]
	v_pk_add_f32 v[4:5], v[6:7], v[22:23] neg_lo:[0,1] neg_hi:[0,1]
	v_pk_fma_f32 v[34:35], v[40:41], s[0:1], v[34:35] op_sel_hi:[1,0,1]
	v_pk_add_f32 v[2:3], v[2:3], v[4:5]
	v_pk_fma_f32 v[4:5], v[46:47], s[8:9], v[0:1] op_sel:[1,0,0] op_sel_hi:[0,0,1] neg_lo:[1,0,0] neg_hi:[1,0,0]
	v_pk_fma_f32 v[0:1], v[46:47], s[8:9], v[0:1] op_sel:[1,0,0] op_sel_hi:[0,0,1]
	v_pk_fma_f32 v[0:1], v[28:29], s[12:13], v[0:1] op_sel:[1,0,0] op_sel_hi:[0,0,1] neg_lo:[1,0,0] neg_hi:[1,0,0]
	v_pk_fma_f32 v[4:5], v[28:29], s[12:13], v[4:5] op_sel:[1,0,0] op_sel_hi:[0,0,1]
	v_mov_b32_e32 v6, v4
	v_mov_b32_e32 v7, v1
	;; [unrolled: 1-line block ×3, first 2 shown]
	v_pk_fma_f32 v[6:7], v[2:3], s[0:1], v[6:7] op_sel_hi:[1,0,1]
	v_pk_fma_f32 v[0:1], v[2:3], s[0:1], v[0:1] op_sel_hi:[1,0,1]
	ds_write2_b64 v10, v[0:1], v[6:7] offset0:22 offset1:33
	ds_write_b64 v10, v[34:35] offset:352
	s_waitcnt lgkmcnt(0)
	; wave barrier
	s_waitcnt lgkmcnt(0)
	ds_read2_b64 v[0:3], v21 offset0:92 offset1:147
	ds_read2_b64 v[4:7], v178 offset1:55
	ds_read2_b64 v[12:15], v44 offset0:38 offset1:93
	ds_read2_b64 v[22:25], v48 offset0:2 offset1:57
	;; [unrolled: 1-line block ×3, first 2 shown]
	s_waitcnt lgkmcnt(4)
	v_pk_mul_f32 v[26:27], v[56:57], v[2:3]
	ds_read2_b64 v[68:71], v128 offset0:184 offset1:239
	v_pk_fma_f32 v[28:29], v[164:165], v[2:3], v[26:27] op_sel:[0,0,1] op_sel_hi:[1,1,0]
	v_pk_fma_f32 v[2:3], v[164:165], v[2:3], v[26:27] op_sel:[0,0,1] op_sel_hi:[1,1,0] neg_lo:[0,0,1] neg_hi:[0,0,1]
	ds_read2_b64 v[180:183], v129 offset0:94 offset1:149
	v_mov_b32_e32 v29, v3
	s_waitcnt lgkmcnt(4)
	v_pk_mul_f32 v[2:3], v[58:59], v[12:13]
	s_waitcnt lgkmcnt(1)
	v_pk_mul_f32 v[50:51], v[76:77], v[68:69]
	v_pk_fma_f32 v[26:27], v[166:167], v[12:13], v[2:3] op_sel:[0,0,1] op_sel_hi:[1,1,0]
	v_pk_fma_f32 v[2:3], v[166:167], v[12:13], v[2:3] op_sel:[0,0,1] op_sel_hi:[1,1,0] neg_lo:[0,0,1] neg_hi:[0,0,1]
	s_movk_i32 s11, 0x1000
	v_mov_b32_e32 v27, v3
	v_pk_mul_f32 v[2:3], v[52:53], v[24:25]
	v_pk_add_f32 v[36:37], v[28:29], v[26:27] neg_lo:[0,1] neg_hi:[0,1]
	v_pk_fma_f32 v[30:31], v[168:169], v[24:25], v[2:3] op_sel:[0,0,1] op_sel_hi:[1,1,0]
	v_pk_fma_f32 v[2:3], v[168:169], v[24:25], v[2:3] op_sel:[0,0,1] op_sel_hi:[1,1,0] neg_lo:[0,0,1] neg_hi:[0,0,1]
	s_movk_i32 s10, 0x2000
	v_mov_b32_e32 v31, v3
	v_pk_mul_f32 v[2:3], v[54:55], v[8:9]
	v_pk_add_f32 v[34:35], v[26:27], v[30:31] neg_lo:[0,1] neg_hi:[0,1]
	v_pk_fma_f32 v[24:25], v[170:171], v[8:9], v[2:3] op_sel:[0,0,1] op_sel_hi:[1,1,0]
	v_pk_fma_f32 v[2:3], v[170:171], v[8:9], v[2:3] op_sel:[0,0,1] op_sel_hi:[1,1,0] neg_lo:[0,0,1] neg_hi:[0,0,1]
	s_nop 0
	v_mov_b32_e32 v25, v3
	v_pk_add_f32 v[2:3], v[4:5], v[28:29]
	v_pk_add_f32 v[32:33], v[28:29], v[24:25] neg_lo:[0,1] neg_hi:[0,1]
	v_pk_add_f32 v[2:3], v[2:3], v[26:27]
	v_pk_add_f32 v[38:39], v[24:25], v[30:31] neg_lo:[0,1] neg_hi:[0,1]
	v_pk_add_f32 v[2:3], v[2:3], v[30:31]
	v_pk_mul_f32 v[12:13], v[32:33], s[8:9] op_sel_hi:[1,0]
	v_pk_add_f32 v[8:9], v[2:3], v[24:25]
	v_pk_add_f32 v[2:3], v[26:27], v[30:31]
	v_pk_add_f32 v[26:27], v[26:27], v[28:29] neg_lo:[0,1] neg_hi:[0,1]
	v_pk_add_f32 v[28:29], v[28:29], v[24:25]
	v_pk_add_f32 v[24:25], v[30:31], v[24:25] neg_lo:[0,1] neg_hi:[0,1]
	v_pk_fma_f32 v[2:3], v[2:3], 0.5, v[4:5] op_sel_hi:[1,0,1] neg_lo:[1,0,0] neg_hi:[1,0,0]
	v_pk_fma_f32 v[4:5], v[28:29], 0.5, v[4:5] op_sel_hi:[1,0,1] neg_lo:[1,0,0] neg_hi:[1,0,0]
	v_pk_add_f32 v[24:25], v[26:27], v[24:25]
	v_pk_mul_f32 v[26:27], v[34:35], s[8:9] op_sel_hi:[1,0]
	v_pk_mul_f32 v[28:29], v[32:33], s[12:13] op_sel_hi:[1,0]
	v_pk_add_f32 v[30:31], v[4:5], v[26:27] op_sel:[0,1] op_sel_hi:[1,0]
	v_pk_add_f32 v[4:5], v[4:5], v[26:27] op_sel:[0,1] op_sel_hi:[1,0] neg_lo:[0,1] neg_hi:[0,1]
	v_pk_add_f32 v[26:27], v[30:31], v[28:29] op_sel:[0,1] op_sel_hi:[1,0] neg_lo:[0,1] neg_hi:[0,1]
	v_pk_add_f32 v[4:5], v[4:5], v[28:29] op_sel:[0,1] op_sel_hi:[1,0]
	v_pk_add_f32 v[36:37], v[36:37], v[38:39]
	v_pk_add_f32 v[38:39], v[2:3], v[12:13] op_sel:[0,1] op_sel_hi:[1,0] neg_lo:[0,1] neg_hi:[0,1]
	v_pk_add_f32 v[2:3], v[2:3], v[12:13] op_sel:[0,1] op_sel_hi:[1,0]
	v_pk_mul_f32 v[12:13], v[34:35], s[12:13] op_sel_hi:[1,0]
	v_mov_b32_e32 v28, v26
	v_mov_b32_e32 v29, v5
	;; [unrolled: 1-line block ×3, first 2 shown]
	ds_read_b64 v[26:27], v178 offset:10560
	v_pk_add_f32 v[2:3], v[2:3], v[12:13] op_sel:[0,1] op_sel_hi:[1,0]
	v_pk_add_f32 v[38:39], v[38:39], v[12:13] op_sel:[0,1] op_sel_hi:[1,0] neg_lo:[0,1] neg_hi:[0,1]
	v_mov_b32_e32 v13, v3
	v_pk_fma_f32 v[34:35], v[24:25], s[0:1], v[4:5] op_sel_hi:[1,0,1]
	v_mov_b32_e32 v3, v39
	v_pk_mul_f32 v[4:5], v[88:89], v[70:71]
	v_pk_fma_f32 v[88:89], v[246:247], v[68:69], v[50:51] op_sel:[0,0,1] op_sel_hi:[1,1,0]
	v_pk_fma_f32 v[50:51], v[246:247], v[68:69], v[50:51] op_sel:[0,0,1] op_sel_hi:[1,1,0] neg_lo:[0,0,1] neg_hi:[0,0,1]
	s_waitcnt lgkmcnt(1)
	v_pk_mul_f32 v[68:69], v[72:73], v[180:181]
	v_pk_fma_f32 v[30:31], v[24:25], s[0:1], v[28:29] op_sel_hi:[1,0,1]
	v_pk_fma_f32 v[32:33], v[36:37], s[0:1], v[2:3] op_sel_hi:[1,0,1]
	v_pk_fma_f32 v[2:3], v[184:185], v[70:71], v[4:5] op_sel:[0,0,1] op_sel_hi:[1,1,0]
	v_pk_fma_f32 v[4:5], v[184:185], v[70:71], v[4:5] op_sel:[0,0,1] op_sel_hi:[1,1,0] neg_lo:[0,0,1] neg_hi:[0,0,1]
	v_pk_mul_f32 v[24:25], v[90:91], v[22:23]
	v_pk_fma_f32 v[90:91], v[248:249], v[180:181], v[68:69] op_sel:[0,0,1] op_sel_hi:[1,1,0]
	v_pk_fma_f32 v[76:77], v[248:249], v[180:181], v[68:69] op_sel:[0,0,1] op_sel_hi:[1,1,0] neg_lo:[0,0,1] neg_hi:[0,0,1]
	ds_read2_b64 v[68:71], v44 offset0:148 offset1:203
	v_mov_b32_e32 v3, v5
	v_pk_fma_f32 v[4:5], v[254:255], v[22:23], v[24:25] op_sel:[0,0,1] op_sel_hi:[1,1,0]
	v_pk_fma_f32 v[22:23], v[254:255], v[22:23], v[24:25] op_sel:[0,0,1] op_sel_hi:[1,1,0] neg_lo:[0,0,1] neg_hi:[0,0,1]
	v_pk_mul_f32 v[24:25], v[80:81], v[182:183]
	s_waitcnt lgkmcnt(1)
	v_pk_mul_f32 v[28:29], v[82:83], v[26:27]
	ds_read2_b64 v[80:83], v42 offset0:186 offset1:241
	v_mov_b32_e32 v89, v51
	s_waitcnt lgkmcnt(1)
	v_pk_mul_f32 v[50:51], v[78:79], v[70:71]
	v_pk_mul_f32 v[66:67], v[66:67], v[68:69]
	v_pk_fma_f32 v[78:79], v[240:241], v[70:71], v[50:51] op_sel:[0,0,1] op_sel_hi:[1,1,0]
	v_pk_fma_f32 v[50:51], v[240:241], v[70:71], v[50:51] op_sel:[0,0,1] op_sel_hi:[1,1,0] neg_lo:[0,0,1] neg_hi:[0,0,1]
	v_pk_fma_f32 v[132:133], v[244:245], v[68:69], v[66:67] op_sel:[0,0,1] op_sel_hi:[1,1,0] neg_lo:[0,0,1] neg_hi:[0,0,1]
	v_mov_b32_e32 v79, v51
	s_waitcnt lgkmcnt(0)
	v_pk_mul_f32 v[50:51], v[74:75], v[82:83]
	v_mov_b32_e32 v91, v77
	v_pk_fma_f32 v[130:131], v[242:243], v[82:83], v[50:51] op_sel:[0,0,1] op_sel_hi:[1,1,0]
	v_pk_fma_f32 v[50:51], v[242:243], v[82:83], v[50:51] op_sel:[0,0,1] op_sel_hi:[1,1,0] neg_lo:[0,0,1] neg_hi:[0,0,1]
	v_pk_fma_f32 v[82:83], v[244:245], v[68:69], v[66:67] op_sel:[0,0,1] op_sel_hi:[1,1,0]
	ds_read2_b64 v[66:69], v128 offset0:74 offset1:129
	ds_read2_b64 v[74:77], v48 offset0:112 offset1:167
	v_mov_b32_e32 v12, v38
	v_pk_fma_f32 v[12:13], v[36:37], s[0:1], v[12:13] op_sel_hi:[1,0,1]
	ds_read2_b64 v[70:73], v178 offset0:110 offset1:165
	s_waitcnt lgkmcnt(2)
	v_pk_mul_f32 v[64:65], v[64:65], v[68:69]
	v_pk_mul_f32 v[56:57], v[56:57], v[66:67]
	v_pk_fma_f32 v[134:135], v[234:235], v[68:69], v[64:65] op_sel:[0,0,1] op_sel_hi:[1,1,0]
	v_pk_fma_f32 v[64:65], v[234:235], v[68:69], v[64:65] op_sel:[0,0,1] op_sel_hi:[1,1,0] neg_lo:[0,0,1] neg_hi:[0,0,1]
	v_pk_fma_f32 v[68:69], v[164:165], v[66:67], v[56:57] op_sel:[0,0,1] op_sel_hi:[1,1,0]
	v_pk_fma_f32 v[56:57], v[164:165], v[66:67], v[56:57] op_sel:[0,0,1] op_sel_hi:[1,1,0] neg_lo:[0,0,1] neg_hi:[0,0,1]
	s_waitcnt lgkmcnt(0)
	v_mov_b32_e32 v69, v57
	v_pk_mul_f32 v[56:57], v[58:59], v[14:15]
	; wave barrier
	s_nop 0
	v_pk_fma_f32 v[58:59], v[166:167], v[14:15], v[56:57] op_sel:[0,0,1] op_sel_hi:[1,1,0]
	v_pk_fma_f32 v[14:15], v[166:167], v[14:15], v[56:57] op_sel:[0,0,1] op_sel_hi:[1,1,0] neg_lo:[0,0,1] neg_hi:[0,0,1]
	ds_write2_b64 v178, v[8:9], v[12:13] offset1:55
	ds_write2_b64 v178, v[30:31], v[34:35] offset0:110 offset1:165
	v_mov_b32_e32 v59, v15
	v_pk_mul_f32 v[14:15], v[52:53], v[74:75]
	v_pk_add_f32 v[66:67], v[68:69], v[58:59] neg_lo:[0,1] neg_hi:[0,1]
	v_pk_fma_f32 v[52:53], v[168:169], v[74:75], v[14:15] op_sel:[0,0,1] op_sel_hi:[1,1,0]
	v_pk_fma_f32 v[14:15], v[168:169], v[74:75], v[14:15] op_sel:[0,0,1] op_sel_hi:[1,1,0] neg_lo:[0,0,1] neg_hi:[0,0,1]
	v_pk_add_f32 v[8:9], v[6:7], v[68:69]
	v_mov_b32_e32 v53, v15
	v_pk_mul_f32 v[14:15], v[54:55], v[10:11]
	v_pk_add_f32 v[56:57], v[58:59], v[52:53] neg_lo:[0,1] neg_hi:[0,1]
	v_pk_fma_f32 v[54:55], v[170:171], v[10:11], v[14:15] op_sel:[0,0,1] op_sel_hi:[1,1,0]
	v_pk_fma_f32 v[10:11], v[170:171], v[10:11], v[14:15] op_sel:[0,0,1] op_sel_hi:[1,1,0] neg_lo:[0,0,1] neg_hi:[0,0,1]
	v_pk_add_f32 v[8:9], v[8:9], v[58:59]
	v_mov_b32_e32 v55, v11
	v_pk_add_f32 v[10:11], v[58:59], v[52:53]
	v_pk_add_f32 v[14:15], v[68:69], v[54:55] neg_lo:[0,1] neg_hi:[0,1]
	v_pk_fma_f32 v[10:11], v[10:11], 0.5, v[6:7] op_sel_hi:[1,0,1] neg_lo:[1,0,0] neg_hi:[1,0,0]
	v_pk_add_f32 v[74:75], v[54:55], v[52:53] neg_lo:[0,1] neg_hi:[0,1]
	v_pk_mul_f32 v[60:61], v[60:61], v[76:77]
	v_pk_add_f32 v[66:67], v[66:67], v[74:75]
	v_pk_fma_f32 v[74:75], v[14:15], s[8:9], v[10:11] op_sel:[1,0,0] op_sel_hi:[0,0,1]
	v_pk_fma_f32 v[10:11], v[14:15], s[8:9], v[10:11] op_sel:[1,0,0] op_sel_hi:[0,0,1] neg_lo:[1,0,0] neg_hi:[1,0,0]
	v_pk_fma_f32 v[10:11], v[56:57], s[12:13], v[10:11] op_sel:[1,0,0] op_sel_hi:[0,0,1] neg_lo:[1,0,0] neg_hi:[1,0,0]
	v_pk_fma_f32 v[74:75], v[56:57], s[12:13], v[74:75] op_sel:[1,0,0] op_sel_hi:[0,0,1]
	v_pk_add_f32 v[8:9], v[8:9], v[52:53]
	v_mov_b32_e32 v135, v65
	v_pk_fma_f32 v[64:65], v[238:239], v[76:77], v[60:61] op_sel:[0,0,1] op_sel_hi:[1,1,0]
	v_pk_fma_f32 v[60:61], v[238:239], v[76:77], v[60:61] op_sel:[0,0,1] op_sel_hi:[1,1,0] neg_lo:[0,0,1] neg_hi:[0,0,1]
	v_mov_b32_e32 v77, v11
	v_pk_add_f32 v[8:9], v[8:9], v[54:55]
	v_mov_b32_e32 v11, v75
	ds_write2_b64 v21, v[32:33], v[8:9] offset0:92 offset1:147
	v_pk_fma_f32 v[8:9], v[66:67], s[0:1], v[10:11] op_sel_hi:[1,0,1]
	v_pk_add_f32 v[10:11], v[68:69], v[54:55]
	v_pk_add_f32 v[12:13], v[52:53], v[54:55] neg_lo:[0,1] neg_hi:[0,1]
	v_pk_fma_f32 v[6:7], v[10:11], 0.5, v[6:7] op_sel_hi:[1,0,1] neg_lo:[1,0,0] neg_hi:[1,0,0]
	v_pk_add_f32 v[10:11], v[58:59], v[68:69] neg_lo:[0,1] neg_hi:[0,1]
	v_mov_b32_e32 v65, v61
	v_pk_add_f32 v[10:11], v[10:11], v[12:13]
	v_pk_fma_f32 v[12:13], v[56:57], s[8:9], v[6:7] op_sel:[1,0,0] op_sel_hi:[0,0,1] neg_lo:[1,0,0] neg_hi:[1,0,0]
	v_pk_fma_f32 v[6:7], v[56:57], s[8:9], v[6:7] op_sel:[1,0,0] op_sel_hi:[0,0,1]
	v_pk_mul_f32 v[60:61], v[62:63], v[80:81]
	v_pk_fma_f32 v[6:7], v[14:15], s[12:13], v[6:7] op_sel:[1,0,0] op_sel_hi:[0,0,1] neg_lo:[1,0,0] neg_hi:[1,0,0]
	v_pk_fma_f32 v[12:13], v[14:15], s[12:13], v[12:13] op_sel:[1,0,0] op_sel_hi:[0,0,1]
	v_pk_fma_f32 v[62:63], v[236:237], v[80:81], v[60:61] op_sel:[0,0,1] op_sel_hi:[1,1,0]
	v_pk_fma_f32 v[60:61], v[236:237], v[80:81], v[60:61] op_sel:[0,0,1] op_sel_hi:[1,1,0] neg_lo:[0,0,1] neg_hi:[0,0,1]
	v_mov_b32_e32 v15, v7
	v_mov_b32_e32 v7, v13
	;; [unrolled: 1-line block ×6, first 2 shown]
	v_pk_fma_f32 v[6:7], v[10:11], s[0:1], v[6:7] op_sel_hi:[1,0,1]
	v_pk_fma_f32 v[76:77], v[66:67], s[0:1], v[76:77] op_sel_hi:[1,0,1]
	;; [unrolled: 1-line block ×3, first 2 shown]
	ds_write2_b64 v128, v[8:9], v[6:7] offset0:74 offset1:129
	ds_write2_b64 v128, v[14:15], v[76:77] offset0:184 offset1:239
	v_pk_add_f32 v[6:7], v[82:83], v[64:65]
	v_pk_add_f32 v[8:9], v[134:135], v[62:63] neg_lo:[0,1] neg_hi:[0,1]
	v_pk_fma_f32 v[6:7], v[6:7], 0.5, v[70:71] op_sel_hi:[1,0,1] neg_lo:[1,0,0] neg_hi:[1,0,0]
	v_pk_mul_f32 v[10:11], v[8:9], s[8:9] op_sel_hi:[1,0]
	v_pk_add_f32 v[12:13], v[82:83], v[64:65] neg_lo:[0,1] neg_hi:[0,1]
	v_pk_add_f32 v[30:31], v[134:135], v[82:83] neg_lo:[0,1] neg_hi:[0,1]
	v_pk_add_f32 v[32:33], v[62:63], v[64:65] neg_lo:[0,1] neg_hi:[0,1]
	v_pk_add_f32 v[60:61], v[70:71], v[134:135]
	v_pk_mul_f32 v[14:15], v[12:13], s[12:13] op_sel_hi:[1,0]
	v_pk_add_f32 v[30:31], v[30:31], v[32:33]
	v_pk_add_f32 v[32:33], v[6:7], v[10:11] op_sel:[0,1] op_sel_hi:[1,0] neg_lo:[0,1] neg_hi:[0,1]
	v_pk_add_f32 v[6:7], v[6:7], v[10:11] op_sel:[0,1] op_sel_hi:[1,0]
	v_pk_add_f32 v[60:61], v[60:61], v[82:83]
	v_pk_add_f32 v[6:7], v[6:7], v[14:15] op_sel:[0,1] op_sel_hi:[1,0]
	v_pk_add_f32 v[10:11], v[32:33], v[14:15] op_sel:[0,1] op_sel_hi:[1,0] neg_lo:[0,1] neg_hi:[0,1]
	v_pk_add_f32 v[60:61], v[60:61], v[64:65]
	v_mov_b32_e32 v14, v10
	v_mov_b32_e32 v15, v7
	v_accvgpr_read_b32 v10, a85
	v_pk_add_f32 v[60:61], v[60:61], v[62:63]
	v_pk_fma_f32 v[14:15], v[30:31], s[0:1], v[14:15] op_sel_hi:[1,0,1]
	v_add_u32_e32 v7, 0x1000, v10
	ds_write2_b64 v7, v[60:61], v[14:15] offset0:38 offset1:93
	v_pk_add_f32 v[14:15], v[134:135], v[62:63]
	v_pk_add_f32 v[32:33], v[82:83], v[134:135] neg_lo:[0,1] neg_hi:[0,1]
	v_pk_fma_f32 v[14:15], v[14:15], 0.5, v[70:71] op_sel_hi:[1,0,1] neg_lo:[1,0,0] neg_hi:[1,0,0]
	v_pk_add_f32 v[34:35], v[64:65], v[62:63] neg_lo:[0,1] neg_hi:[0,1]
	v_pk_mul_f32 v[12:13], v[12:13], s[8:9] op_sel_hi:[1,0]
	v_pk_add_f32 v[32:33], v[32:33], v[34:35]
	v_pk_mul_f32 v[8:9], v[8:9], s[12:13] op_sel_hi:[1,0]
	v_pk_add_f32 v[34:35], v[14:15], v[12:13] op_sel:[0,1] op_sel_hi:[1,0]
	v_pk_add_f32 v[12:13], v[14:15], v[12:13] op_sel:[0,1] op_sel_hi:[1,0] neg_lo:[0,1] neg_hi:[0,1]
	v_mov_b32_e32 v131, v51
	v_pk_add_f32 v[12:13], v[12:13], v[8:9] op_sel:[0,1] op_sel_hi:[1,0]
	v_pk_add_f32 v[8:9], v[34:35], v[8:9] op_sel:[0,1] op_sel_hi:[1,0] neg_lo:[0,1] neg_hi:[0,1]
	v_mov_b32_e32 v15, v13
	v_mov_b32_e32 v14, v8
	;; [unrolled: 1-line block ×3, first 2 shown]
	v_pk_fma_f32 v[14:15], v[32:33], s[0:1], v[14:15] op_sel_hi:[1,0,1]
	v_pk_fma_f32 v[8:9], v[32:33], s[0:1], v[12:13] op_sel_hi:[1,0,1]
	ds_write2_b64 v7, v[14:15], v[8:9] offset0:148 offset1:203
	v_mov_b32_e32 v7, v11
	v_pk_fma_f32 v[6:7], v[30:31], s[0:1], v[6:7] op_sel_hi:[1,0,1]
	ds_write_b64 v10, v[6:7] offset:6160
	v_pk_add_f32 v[6:7], v[78:79], v[90:91]
	v_pk_add_f32 v[8:9], v[88:89], v[130:131] neg_lo:[0,1] neg_hi:[0,1]
	v_pk_fma_f32 v[6:7], v[6:7], 0.5, v[72:73] op_sel_hi:[1,0,1] neg_lo:[1,0,0] neg_hi:[1,0,0]
	v_pk_mul_f32 v[10:11], v[8:9], s[8:9] op_sel_hi:[1,0]
	v_pk_add_f32 v[12:13], v[78:79], v[90:91] neg_lo:[0,1] neg_hi:[0,1]
	v_pk_add_f32 v[30:31], v[88:89], v[78:79] neg_lo:[0,1] neg_hi:[0,1]
	;; [unrolled: 1-line block ×3, first 2 shown]
	v_pk_add_f32 v[50:51], v[72:73], v[88:89]
	v_pk_mul_f32 v[14:15], v[12:13], s[12:13] op_sel_hi:[1,0]
	v_pk_add_f32 v[30:31], v[30:31], v[32:33]
	v_pk_add_f32 v[32:33], v[6:7], v[10:11] op_sel:[0,1] op_sel_hi:[1,0] neg_lo:[0,1] neg_hi:[0,1]
	v_pk_add_f32 v[6:7], v[6:7], v[10:11] op_sel:[0,1] op_sel_hi:[1,0]
	v_pk_add_f32 v[50:51], v[50:51], v[78:79]
	v_pk_add_f32 v[6:7], v[6:7], v[14:15] op_sel:[0,1] op_sel_hi:[1,0]
	v_pk_add_f32 v[10:11], v[32:33], v[14:15] op_sel:[0,1] op_sel_hi:[1,0] neg_lo:[0,1] neg_hi:[0,1]
	v_pk_add_f32 v[50:51], v[50:51], v[90:91]
	v_mov_b32_e32 v14, v10
	v_mov_b32_e32 v15, v7
	v_accvgpr_read_b32 v10, a81
	v_pk_add_f32 v[50:51], v[50:51], v[130:131]
	v_pk_fma_f32 v[14:15], v[30:31], s[0:1], v[14:15] op_sel_hi:[1,0,1]
	v_add_u32_e32 v7, 0x1800, v10
	ds_write2_b64 v7, v[50:51], v[14:15] offset0:57 offset1:112
	v_pk_add_f32 v[14:15], v[88:89], v[130:131]
	v_pk_add_f32 v[32:33], v[78:79], v[88:89] neg_lo:[0,1] neg_hi:[0,1]
	v_pk_fma_f32 v[14:15], v[14:15], 0.5, v[72:73] op_sel_hi:[1,0,1] neg_lo:[1,0,0] neg_hi:[1,0,0]
	v_pk_add_f32 v[34:35], v[90:91], v[130:131] neg_lo:[0,1] neg_hi:[0,1]
	v_pk_mul_f32 v[12:13], v[12:13], s[8:9] op_sel_hi:[1,0]
	v_pk_add_f32 v[32:33], v[32:33], v[34:35]
	v_pk_mul_f32 v[8:9], v[8:9], s[12:13] op_sel_hi:[1,0]
	v_pk_add_f32 v[34:35], v[14:15], v[12:13] op_sel:[0,1] op_sel_hi:[1,0]
	v_pk_add_f32 v[12:13], v[14:15], v[12:13] op_sel:[0,1] op_sel_hi:[1,0] neg_lo:[0,1] neg_hi:[0,1]
	v_mov_b32_e32 v5, v23
	v_pk_add_f32 v[12:13], v[12:13], v[8:9] op_sel:[0,1] op_sel_hi:[1,0]
	v_pk_add_f32 v[8:9], v[34:35], v[8:9] op_sel:[0,1] op_sel_hi:[1,0] neg_lo:[0,1] neg_hi:[0,1]
	v_pk_fma_f32 v[22:23], v[250:251], v[182:183], v[24:25] op_sel:[0,0,1] op_sel_hi:[1,1,0]
	v_pk_fma_f32 v[24:25], v[250:251], v[182:183], v[24:25] op_sel:[0,0,1] op_sel_hi:[1,1,0] neg_lo:[0,0,1] neg_hi:[0,0,1]
	v_mov_b32_e32 v14, v8
	v_mov_b32_e32 v15, v13
	;; [unrolled: 1-line block ×4, first 2 shown]
	v_pk_fma_f32 v[24:25], v[252:253], v[26:27], v[28:29] op_sel:[0,0,1] op_sel_hi:[1,1,0]
	v_pk_fma_f32 v[26:27], v[252:253], v[26:27], v[28:29] op_sel:[0,0,1] op_sel_hi:[1,1,0] neg_lo:[0,0,1] neg_hi:[0,0,1]
	v_pk_fma_f32 v[14:15], v[32:33], s[0:1], v[14:15] op_sel_hi:[1,0,1]
	v_pk_fma_f32 v[8:9], v[32:33], s[0:1], v[12:13] op_sel_hi:[1,0,1]
	v_mov_b32_e32 v25, v27
	v_pk_add_f32 v[26:27], v[4:5], v[22:23]
	ds_write2_b64 v7, v[14:15], v[8:9] offset0:167 offset1:222
	v_mov_b32_e32 v7, v11
	v_pk_fma_f32 v[38:39], v[26:27], 0.5, v[0:1] op_sel_hi:[1,0,1] neg_lo:[1,0,0] neg_hi:[1,0,0]
	v_pk_add_f32 v[26:27], v[2:3], v[24:25] neg_lo:[0,1] neg_hi:[0,1]
	v_pk_add_f32 v[36:37], v[2:3], v[4:5] neg_lo:[0,1] neg_hi:[0,1]
	;; [unrolled: 1-line block ×3, first 2 shown]
	v_pk_fma_f32 v[6:7], v[30:31], s[0:1], v[6:7] op_sel_hi:[1,0,1]
	v_pk_add_f32 v[28:29], v[4:5], v[22:23] neg_lo:[0,1] neg_hi:[0,1]
	v_pk_add_f32 v[36:37], v[36:37], v[40:41]
	v_pk_fma_f32 v[40:41], v[26:27], s[8:9], v[38:39] op_sel:[1,0,0] op_sel_hi:[0,0,1]
	v_pk_fma_f32 v[38:39], v[26:27], s[8:9], v[38:39] op_sel:[1,0,0] op_sel_hi:[0,0,1] neg_lo:[1,0,0] neg_hi:[1,0,0]
	ds_write_b64 v10, v[6:7] offset:8360
	v_pk_add_f32 v[6:7], v[0:1], v[2:3]
	v_pk_fma_f32 v[38:39], v[28:29], s[12:13], v[38:39] op_sel:[1,0,0] op_sel_hi:[0,0,1] neg_lo:[1,0,0] neg_hi:[1,0,0]
	v_pk_fma_f32 v[40:41], v[28:29], s[12:13], v[40:41] op_sel:[1,0,0] op_sel_hi:[0,0,1]
	v_pk_add_f32 v[6:7], v[6:7], v[4:5]
	v_mov_b32_e32 v47, v39
	v_pk_add_f32 v[6:7], v[6:7], v[22:23]
	v_mov_b32_e32 v39, v41
	v_accvgpr_read_b32 v11, a80
	v_pk_add_f32 v[6:7], v[6:7], v[24:25]
	v_pk_fma_f32 v[8:9], v[36:37], s[0:1], v[38:39] op_sel_hi:[1,0,1]
	v_add_u32_e32 v10, 0x2000, v11
	ds_write2_b64 v10, v[6:7], v[8:9] offset0:76 offset1:131
	v_pk_add_f32 v[6:7], v[2:3], v[24:25]
	v_pk_add_f32 v[2:3], v[4:5], v[2:3] neg_lo:[0,1] neg_hi:[0,1]
	v_pk_fma_f32 v[0:1], v[6:7], 0.5, v[0:1] op_sel_hi:[1,0,1] neg_lo:[1,0,0] neg_hi:[1,0,0]
	v_pk_add_f32 v[4:5], v[22:23], v[24:25] neg_lo:[0,1] neg_hi:[0,1]
	v_mov_b32_e32 v46, v40
	v_pk_add_f32 v[2:3], v[2:3], v[4:5]
	v_pk_fma_f32 v[4:5], v[28:29], s[8:9], v[0:1] op_sel:[1,0,0] op_sel_hi:[0,0,1] neg_lo:[1,0,0] neg_hi:[1,0,0]
	v_pk_fma_f32 v[0:1], v[28:29], s[8:9], v[0:1] op_sel:[1,0,0] op_sel_hi:[0,0,1]
	v_pk_fma_f32 v[0:1], v[26:27], s[12:13], v[0:1] op_sel:[1,0,0] op_sel_hi:[0,0,1] neg_lo:[1,0,0] neg_hi:[1,0,0]
	v_pk_fma_f32 v[4:5], v[26:27], s[12:13], v[4:5] op_sel:[1,0,0] op_sel_hi:[0,0,1]
	v_mov_b32_e32 v6, v4
	v_mov_b32_e32 v7, v1
	;; [unrolled: 1-line block ×3, first 2 shown]
	v_pk_fma_f32 v[6:7], v[2:3], s[0:1], v[6:7] op_sel_hi:[1,0,1]
	v_pk_fma_f32 v[0:1], v[2:3], s[0:1], v[0:1] op_sel_hi:[1,0,1]
	;; [unrolled: 1-line block ×3, first 2 shown]
	ds_write2_b64 v10, v[0:1], v[6:7] offset0:186 offset1:241
	ds_write_b64 v11, v[46:47] offset:10560
	s_waitcnt lgkmcnt(0)
	; wave barrier
	s_waitcnt lgkmcnt(0)
	ds_read2_b64 v[0:3], v21 offset0:92 offset1:147
	ds_read2_b64 v[4:7], v178 offset1:55
	ds_read2_b64 v[8:11], v44 offset0:38 offset1:93
	ds_read2_b64 v[12:15], v48 offset0:2 offset1:57
	;; [unrolled: 1-line block ×3, first 2 shown]
	v_accvgpr_read_b32 v28, a112
	s_waitcnt lgkmcnt(4)
	v_pk_mul_f32 v[26:27], v[124:125], v[2:3]
	v_accvgpr_read_b32 v29, a113
	v_pk_fma_f32 v[38:39], v[28:29], v[2:3], v[26:27] op_sel:[0,0,1] op_sel_hi:[1,1,0]
	v_pk_fma_f32 v[2:3], v[28:29], v[2:3], v[26:27] op_sel:[0,0,1] op_sel_hi:[1,1,0] neg_lo:[0,0,1] neg_hi:[0,0,1]
	v_accvgpr_read_b32 v26, a114
	v_mov_b32_e32 v39, v3
	s_waitcnt lgkmcnt(2)
	v_pk_mul_f32 v[2:3], v[126:127], v[8:9]
	v_accvgpr_read_b32 v27, a115
	v_pk_fma_f32 v[40:41], v[26:27], v[8:9], v[2:3] op_sel:[0,0,1] op_sel_hi:[1,1,0]
	v_pk_fma_f32 v[2:3], v[26:27], v[8:9], v[2:3] op_sel:[0,0,1] op_sel_hi:[1,1,0] neg_lo:[0,0,1] neg_hi:[0,0,1]
	v_accvgpr_read_b32 v8, a116
	ds_read2_b64 v[26:29], v128 offset0:74 offset1:129
	v_mov_b32_e32 v41, v3
	s_waitcnt lgkmcnt(2)
	v_pk_mul_f32 v[2:3], v[120:121], v[14:15]
	v_accvgpr_read_b32 v9, a117
	v_pk_fma_f32 v[46:47], v[8:9], v[14:15], v[2:3] op_sel:[0,0,1] op_sel_hi:[1,1,0]
	v_pk_fma_f32 v[2:3], v[8:9], v[14:15], v[2:3] op_sel:[0,0,1] op_sel_hi:[1,1,0] neg_lo:[0,0,1] neg_hi:[0,0,1]
	v_accvgpr_read_b32 v8, a118
	v_mov_b32_e32 v47, v3
	s_waitcnt lgkmcnt(1)
	v_pk_mul_f32 v[2:3], v[122:123], v[22:23]
	v_accvgpr_read_b32 v9, a119
	v_pk_fma_f32 v[14:15], v[8:9], v[22:23], v[2:3] op_sel:[0,0,1] op_sel_hi:[1,1,0]
	v_pk_fma_f32 v[2:3], v[8:9], v[22:23], v[2:3] op_sel:[0,0,1] op_sel_hi:[1,1,0] neg_lo:[0,0,1] neg_hi:[0,0,1]
	ds_read2_b64 v[30:33], v48 offset0:112 offset1:167
	v_accvgpr_read_b32 v22, a88
	s_waitcnt lgkmcnt(1)
	v_pk_mul_f32 v[8:9], v[116:117], v[26:27]
	v_accvgpr_read_b32 v23, a89
	v_pk_fma_f32 v[50:51], v[22:23], v[26:27], v[8:9] op_sel:[0,0,1] op_sel_hi:[1,1,0]
	v_pk_fma_f32 v[8:9], v[22:23], v[26:27], v[8:9] op_sel:[0,0,1] op_sel_hi:[1,1,0] neg_lo:[0,0,1] neg_hi:[0,0,1]
	v_accvgpr_read_b32 v22, a90
	v_mov_b32_e32 v51, v9
	v_pk_mul_f32 v[8:9], v[118:119], v[10:11]
	v_accvgpr_read_b32 v23, a91
	v_pk_fma_f32 v[52:53], v[22:23], v[10:11], v[8:9] op_sel:[0,0,1] op_sel_hi:[1,1,0]
	v_pk_fma_f32 v[8:9], v[22:23], v[10:11], v[8:9] op_sel:[0,0,1] op_sel_hi:[1,1,0] neg_lo:[0,0,1] neg_hi:[0,0,1]
	v_accvgpr_read_b32 v10, a92
	v_mov_b32_e32 v53, v9
	s_waitcnt lgkmcnt(0)
	v_pk_mul_f32 v[8:9], v[108:109], v[30:31]
	v_accvgpr_read_b32 v11, a93
	v_pk_fma_f32 v[54:55], v[10:11], v[30:31], v[8:9] op_sel:[0,0,1] op_sel_hi:[1,1,0]
	v_pk_fma_f32 v[8:9], v[10:11], v[30:31], v[8:9] op_sel:[0,0,1] op_sel_hi:[1,1,0] neg_lo:[0,0,1] neg_hi:[0,0,1]
	v_accvgpr_read_b32 v10, a98
	v_mov_b32_e32 v55, v9
	v_pk_mul_f32 v[8:9], v[110:111], v[24:25]
	v_accvgpr_read_b32 v11, a99
	v_pk_fma_f32 v[56:57], v[10:11], v[24:25], v[8:9] op_sel:[0,0,1] op_sel_hi:[1,1,0]
	v_pk_fma_f32 v[8:9], v[10:11], v[24:25], v[8:9] op_sel:[0,0,1] op_sel_hi:[1,1,0] neg_lo:[0,0,1] neg_hi:[0,0,1]
	v_accvgpr_read_b32 v30, a94
	v_mov_b32_e32 v57, v9
	v_pk_add_f32 v[8:9], v[6:7], v[50:51]
	v_pk_mul_f32 v[26:27], v[104:105], v[28:29]
	v_pk_add_f32 v[8:9], v[8:9], v[52:53]
	v_accvgpr_read_b32 v31, a95
	v_pk_add_f32 v[8:9], v[8:9], v[54:55]
	v_pk_fma_f32 v[60:61], v[30:31], v[28:29], v[26:27] op_sel:[0,0,1] op_sel_hi:[1,1,0]
	v_pk_add_f32 v[58:59], v[8:9], v[56:57]
	ds_read2_b64 v[8:11], v178 offset0:110 offset1:165
	ds_read2_b64 v[22:25], v44 offset0:148 offset1:203
	;; [unrolled: 1-line block ×3, first 2 shown]
	v_pk_fma_f32 v[26:27], v[30:31], v[28:29], v[26:27] op_sel:[0,0,1] op_sel_hi:[1,1,0] neg_lo:[0,0,1] neg_hi:[0,0,1]
	v_accvgpr_read_b32 v28, a96
	v_mov_b32_e32 v61, v27
	s_waitcnt lgkmcnt(1)
	v_pk_mul_f32 v[26:27], v[106:107], v[22:23]
	v_accvgpr_read_b32 v29, a97
	v_pk_fma_f32 v[62:63], v[28:29], v[22:23], v[26:27] op_sel:[0,0,1] op_sel_hi:[1,1,0]
	v_pk_fma_f32 v[22:23], v[28:29], v[22:23], v[26:27] op_sel:[0,0,1] op_sel_hi:[1,1,0] neg_lo:[0,0,1] neg_hi:[0,0,1]
	v_accvgpr_read_b32 v26, a100
	v_mov_b32_e32 v63, v23
	v_pk_mul_f32 v[22:23], v[96:97], v[32:33]
	v_accvgpr_read_b32 v27, a101
	v_pk_fma_f32 v[64:65], v[26:27], v[32:33], v[22:23] op_sel:[0,0,1] op_sel_hi:[1,1,0]
	v_pk_fma_f32 v[22:23], v[26:27], v[32:33], v[22:23] op_sel:[0,0,1] op_sel_hi:[1,1,0] neg_lo:[0,0,1] neg_hi:[0,0,1]
	v_accvgpr_read_b32 v26, a102
	v_mov_b32_e32 v65, v23
	s_waitcnt lgkmcnt(0)
	v_pk_mul_f32 v[22:23], v[98:99], v[34:35]
	v_accvgpr_read_b32 v27, a103
	v_pk_fma_f32 v[66:67], v[26:27], v[34:35], v[22:23] op_sel:[0,0,1] op_sel_hi:[1,1,0]
	v_pk_fma_f32 v[22:23], v[26:27], v[34:35], v[22:23] op_sel:[0,0,1] op_sel_hi:[1,1,0] neg_lo:[0,0,1] neg_hi:[0,0,1]
	ds_read2_b64 v[26:29], v128 offset0:184 offset1:239
	ds_read2_b64 v[30:33], v129 offset0:94 offset1:149
	v_accvgpr_read_b32 v70, a108
	v_accvgpr_read_b32 v71, a109
	;; [unrolled: 1-line block ×3, first 2 shown]
	s_waitcnt lgkmcnt(1)
	v_pk_mul_f32 v[34:35], v[92:93], v[26:27]
	v_mov_b32_e32 v15, v3
	v_pk_fma_f32 v[68:69], v[70:71], v[26:27], v[34:35] op_sel:[0,0,1] op_sel_hi:[1,1,0]
	v_pk_fma_f32 v[26:27], v[70:71], v[26:27], v[34:35] op_sel:[0,0,1] op_sel_hi:[1,1,0] neg_lo:[0,0,1] neg_hi:[0,0,1]
	v_accvgpr_read_b32 v70, a104
	v_mov_b32_e32 v69, v27
	v_pk_mul_f32 v[26:27], v[94:95], v[24:25]
	v_accvgpr_read_b32 v71, a105
	v_pk_fma_f32 v[34:35], v[70:71], v[24:25], v[26:27] op_sel:[0,0,1] op_sel_hi:[1,1,0]
	v_pk_fma_f32 v[24:25], v[70:71], v[24:25], v[26:27] op_sel:[0,0,1] op_sel_hi:[1,1,0] neg_lo:[0,0,1] neg_hi:[0,0,1]
	v_accvgpr_read_b32 v70, a110
	v_mov_b32_e32 v35, v25
	s_waitcnt lgkmcnt(0)
	v_pk_mul_f32 v[24:25], v[84:85], v[30:31]
	v_accvgpr_read_b32 v71, a111
	v_pk_fma_f32 v[26:27], v[70:71], v[30:31], v[24:25] op_sel:[0,0,1] op_sel_hi:[1,1,0]
	v_pk_fma_f32 v[24:25], v[70:71], v[30:31], v[24:25] op_sel:[0,0,1] op_sel_hi:[1,1,0] neg_lo:[0,0,1] neg_hi:[0,0,1]
	v_pk_mul_f32 v[70:71], v[112:113], v[28:29]
	v_mov_b32_e32 v27, v25
	v_pk_mul_f32 v[24:25], v[86:87], v[36:37]
	v_pk_fma_f32 v[72:73], v[208:209], v[28:29], v[70:71] op_sel:[0,0,1] op_sel_hi:[1,1,0]
	v_pk_fma_f32 v[30:31], v[224:225], v[36:37], v[24:25] op_sel:[0,0,1] op_sel_hi:[1,1,0]
	v_pk_fma_f32 v[24:25], v[224:225], v[36:37], v[24:25] op_sel:[0,0,1] op_sel_hi:[1,1,0] neg_lo:[0,0,1] neg_hi:[0,0,1]
	ds_read_b64 v[36:37], v178 offset:10560
	v_pk_fma_f32 v[28:29], v[208:209], v[28:29], v[70:71] op_sel:[0,0,1] op_sel_hi:[1,1,0] neg_lo:[0,0,1] neg_hi:[0,0,1]
	v_accvgpr_read_b32 v75, a87
	v_mov_b32_e32 v73, v29
	v_pk_mul_f32 v[28:29], v[114:115], v[12:13]
	v_pk_add_f32 v[2:3], v[4:5], v[38:39]
	v_pk_fma_f32 v[70:71], v[230:231], v[12:13], v[28:29] op_sel:[0,0,1] op_sel_hi:[1,1,0]
	v_pk_fma_f32 v[12:13], v[230:231], v[12:13], v[28:29] op_sel:[0,0,1] op_sel_hi:[1,1,0] neg_lo:[0,0,1] neg_hi:[0,0,1]
	v_pk_add_f32 v[2:3], v[2:3], v[40:41]
	v_mov_b32_e32 v71, v13
	v_pk_mul_f32 v[12:13], v[100:101], v[32:33]
	v_pk_add_f32 v[78:79], v[40:41], v[46:47] neg_lo:[0,1] neg_hi:[0,1]
	v_pk_fma_f32 v[28:29], v[232:233], v[32:33], v[12:13] op_sel:[0,0,1] op_sel_hi:[1,1,0]
	v_pk_fma_f32 v[12:13], v[232:233], v[32:33], v[12:13] op_sel:[0,0,1] op_sel_hi:[1,1,0] neg_lo:[0,0,1] neg_hi:[0,0,1]
	v_pk_add_f32 v[82:83], v[38:39], v[40:41] neg_lo:[0,1] neg_hi:[0,1]
	v_mov_b32_e32 v29, v13
	s_waitcnt lgkmcnt(0)
	v_pk_mul_f32 v[12:13], v[102:103], v[36:37]
	v_pk_add_f32 v[84:85], v[14:15], v[46:47] neg_lo:[0,1] neg_hi:[0,1]
	v_pk_fma_f32 v[32:33], v[74:75], v[36:37], v[12:13] op_sel:[0,0,1] op_sel_hi:[1,1,0]
	v_pk_fma_f32 v[12:13], v[74:75], v[36:37], v[12:13] op_sel:[0,0,1] op_sel_hi:[1,1,0] neg_lo:[0,0,1] neg_hi:[0,0,1]
	v_pk_add_f32 v[36:37], v[40:41], v[46:47]
	v_pk_add_f32 v[74:75], v[38:39], v[14:15] neg_lo:[0,1] neg_hi:[0,1]
	v_pk_fma_f32 v[36:37], v[36:37], 0.5, v[4:5] op_sel_hi:[1,0,1] neg_lo:[1,0,0] neg_hi:[1,0,0]
	v_pk_mul_f32 v[76:77], v[74:75], s[8:9] op_sel_hi:[1,0]
	v_pk_add_f32 v[2:3], v[2:3], v[46:47]
	v_pk_mul_f32 v[80:81], v[78:79], s[12:13] op_sel_hi:[1,0]
	v_pk_add_f32 v[82:83], v[82:83], v[84:85]
	v_pk_add_f32 v[84:85], v[36:37], v[76:77] op_sel:[0,1] op_sel_hi:[1,0] neg_lo:[0,1] neg_hi:[0,1]
	v_pk_add_f32 v[2:3], v[2:3], v[14:15]
	v_pk_add_f32 v[36:37], v[36:37], v[76:77] op_sel:[0,1] op_sel_hi:[1,0]
	v_pk_add_f32 v[76:77], v[84:85], v[80:81] op_sel:[0,1] op_sel_hi:[1,0] neg_lo:[0,1] neg_hi:[0,1]
	v_pk_add_f32 v[84:85], v[38:39], v[14:15]
	v_pk_add_f32 v[38:39], v[40:41], v[38:39] neg_lo:[0,1] neg_hi:[0,1]
	v_pk_add_f32 v[14:15], v[46:47], v[14:15] neg_lo:[0,1] neg_hi:[0,1]
	v_pk_fma_f32 v[4:5], v[84:85], 0.5, v[4:5] op_sel_hi:[1,0,1] neg_lo:[1,0,0] neg_hi:[1,0,0]
	v_pk_add_f32 v[14:15], v[38:39], v[14:15]
	v_pk_mul_f32 v[38:39], v[78:79], s[8:9] op_sel_hi:[1,0]
	v_pk_mul_f32 v[40:41], v[74:75], s[12:13] op_sel_hi:[1,0]
	v_pk_add_f32 v[46:47], v[4:5], v[38:39] op_sel:[0,1] op_sel_hi:[1,0]
	v_pk_add_f32 v[4:5], v[4:5], v[38:39] op_sel:[0,1] op_sel_hi:[1,0] neg_lo:[0,1] neg_hi:[0,1]
	v_pk_add_f32 v[36:37], v[36:37], v[80:81] op_sel:[0,1] op_sel_hi:[1,0]
	v_pk_add_f32 v[4:5], v[4:5], v[40:41] op_sel:[0,1] op_sel_hi:[1,0]
	v_pk_add_f32 v[38:39], v[46:47], v[40:41] op_sel:[0,1] op_sel_hi:[1,0] neg_lo:[0,1] neg_hi:[0,1]
	v_mov_b32_e32 v81, v37
	v_mov_b32_e32 v40, v38
	;; [unrolled: 1-line block ×6, first 2 shown]
	v_pk_fma_f32 v[40:41], v[14:15], s[0:1], v[40:41] op_sel_hi:[1,0,1]
	v_pk_fma_f32 v[4:5], v[14:15], s[0:1], v[4:5] op_sel_hi:[1,0,1]
	v_pk_fma_f32 v[14:15], v[82:83], s[0:1], v[36:37] op_sel_hi:[1,0,1]
	v_pk_add_f32 v[36:37], v[52:53], v[54:55]
	v_pk_add_f32 v[38:39], v[50:51], v[56:57] neg_lo:[0,1] neg_hi:[0,1]
	v_pk_fma_f32 v[80:81], v[82:83], s[0:1], v[80:81] op_sel_hi:[1,0,1]
	v_pk_fma_f32 v[36:37], v[36:37], 0.5, v[6:7] op_sel_hi:[1,0,1] neg_lo:[1,0,0] neg_hi:[1,0,0]
	v_pk_mul_f32 v[46:47], v[38:39], s[8:9] op_sel_hi:[1,0]
	v_pk_add_f32 v[74:75], v[52:53], v[54:55] neg_lo:[0,1] neg_hi:[0,1]
	v_pk_add_f32 v[78:79], v[50:51], v[52:53] neg_lo:[0,1] neg_hi:[0,1]
	;; [unrolled: 1-line block ×3, first 2 shown]
	v_pk_mul_f32 v[76:77], v[74:75], s[12:13] op_sel_hi:[1,0]
	v_pk_add_f32 v[78:79], v[78:79], v[82:83]
	v_pk_add_f32 v[82:83], v[36:37], v[46:47] op_sel:[0,1] op_sel_hi:[1,0] neg_lo:[0,1] neg_hi:[0,1]
	v_pk_add_f32 v[36:37], v[36:37], v[46:47] op_sel:[0,1] op_sel_hi:[1,0]
	v_pk_add_f32 v[46:47], v[82:83], v[76:77] op_sel:[0,1] op_sel_hi:[1,0] neg_lo:[0,1] neg_hi:[0,1]
	v_pk_add_f32 v[82:83], v[50:51], v[56:57]
	v_pk_add_f32 v[50:51], v[52:53], v[50:51] neg_lo:[0,1] neg_hi:[0,1]
	v_pk_add_f32 v[52:53], v[54:55], v[56:57] neg_lo:[0,1] neg_hi:[0,1]
	v_pk_fma_f32 v[6:7], v[82:83], 0.5, v[6:7] op_sel_hi:[1,0,1] neg_lo:[1,0,0] neg_hi:[1,0,0]
	v_pk_add_f32 v[50:51], v[50:51], v[52:53]
	v_pk_mul_f32 v[52:53], v[74:75], s[8:9] op_sel_hi:[1,0]
	v_pk_mul_f32 v[38:39], v[38:39], s[12:13] op_sel_hi:[1,0]
	v_pk_add_f32 v[54:55], v[6:7], v[52:53] op_sel:[0,1] op_sel_hi:[1,0]
	v_pk_add_f32 v[6:7], v[6:7], v[52:53] op_sel:[0,1] op_sel_hi:[1,0] neg_lo:[0,1] neg_hi:[0,1]
	v_pk_add_f32 v[36:37], v[36:37], v[76:77] op_sel:[0,1] op_sel_hi:[1,0]
	v_pk_add_f32 v[6:7], v[6:7], v[38:39] op_sel:[0,1] op_sel_hi:[1,0]
	v_pk_add_f32 v[38:39], v[54:55], v[38:39] op_sel:[0,1] op_sel_hi:[1,0] neg_lo:[0,1] neg_hi:[0,1]
	v_mov_b32_e32 v53, v7
	v_mov_b32_e32 v7, v39
	;; [unrolled: 1-line block ×4, first 2 shown]
	v_pk_fma_f32 v[6:7], v[50:51], s[0:1], v[6:7] op_sel_hi:[1,0,1]
	v_mov_b32_e32 v37, v47
	v_mov_b32_e32 v67, v23
	;; [unrolled: 1-line block ×3, first 2 shown]
	v_pk_fma_f32 v[52:53], v[50:51], s[0:1], v[52:53] op_sel_hi:[1,0,1]
	ds_write2_b64 v48, v[4:5], v[6:7] offset0:57 offset1:112
	v_pk_fma_f32 v[4:5], v[78:79], s[0:1], v[36:37] op_sel_hi:[1,0,1]
	v_pk_fma_f32 v[76:77], v[78:79], s[0:1], v[76:77] op_sel_hi:[1,0,1]
	ds_write2_b64 v44, v[40:41], v[52:53] offset0:38 offset1:93
	ds_write2_b64 v42, v[14:15], v[4:5] offset0:76 offset1:131
	;; [unrolled: 1-line block ×3, first 2 shown]
	ds_write2_b64 v178, v[2:3], v[58:59] offset1:55
	v_pk_add_f32 v[2:3], v[62:63], v[64:65]
	v_pk_add_f32 v[4:5], v[60:61], v[66:67] neg_lo:[0,1] neg_hi:[0,1]
	v_pk_fma_f32 v[2:3], v[2:3], 0.5, v[8:9] op_sel_hi:[1,0,1] neg_lo:[1,0,0] neg_hi:[1,0,0]
	v_pk_mul_f32 v[6:7], v[4:5], s[8:9] op_sel_hi:[1,0]
	v_pk_add_f32 v[14:15], v[62:63], v[64:65] neg_lo:[0,1] neg_hi:[0,1]
	v_pk_add_f32 v[38:39], v[60:61], v[62:63] neg_lo:[0,1] neg_hi:[0,1]
	v_pk_add_f32 v[40:41], v[66:67], v[64:65] neg_lo:[0,1] neg_hi:[0,1]
	v_pk_mul_f32 v[36:37], v[14:15], s[12:13] op_sel_hi:[1,0]
	v_pk_add_f32 v[38:39], v[38:39], v[40:41]
	v_pk_add_f32 v[40:41], v[2:3], v[6:7] op_sel:[0,1] op_sel_hi:[1,0] neg_lo:[0,1] neg_hi:[0,1]
	v_pk_add_f32 v[2:3], v[2:3], v[6:7] op_sel:[0,1] op_sel_hi:[1,0]
	v_pk_add_f32 v[6:7], v[40:41], v[36:37] op_sel:[0,1] op_sel_hi:[1,0] neg_lo:[0,1] neg_hi:[0,1]
	v_pk_add_f32 v[40:41], v[60:61], v[66:67]
	v_pk_add_f32 v[22:23], v[8:9], v[60:61]
	v_pk_fma_f32 v[8:9], v[40:41], 0.5, v[8:9] op_sel_hi:[1,0,1] neg_lo:[1,0,0] neg_hi:[1,0,0]
	v_pk_add_f32 v[40:41], v[62:63], v[60:61] neg_lo:[0,1] neg_hi:[0,1]
	v_pk_add_f32 v[46:47], v[64:65], v[66:67] neg_lo:[0,1] neg_hi:[0,1]
	v_pk_mul_f32 v[14:15], v[14:15], s[8:9] op_sel_hi:[1,0]
	v_mov_b32_e32 v31, v25
	v_pk_add_f32 v[24:25], v[10:11], v[68:69]
	v_pk_add_f32 v[40:41], v[40:41], v[46:47]
	v_pk_mul_f32 v[4:5], v[4:5], s[12:13] op_sel_hi:[1,0]
	v_pk_add_f32 v[46:47], v[8:9], v[14:15] op_sel:[0,1] op_sel_hi:[1,0]
	v_pk_add_f32 v[8:9], v[8:9], v[14:15] op_sel:[0,1] op_sel_hi:[1,0] neg_lo:[0,1] neg_hi:[0,1]
	v_pk_add_f32 v[22:23], v[22:23], v[62:63]
	v_pk_add_f32 v[24:25], v[24:25], v[34:35]
	v_pk_add_f32 v[8:9], v[8:9], v[4:5] op_sel:[0,1] op_sel_hi:[1,0]
	v_pk_add_f32 v[4:5], v[46:47], v[4:5] op_sel:[0,1] op_sel_hi:[1,0] neg_lo:[0,1] neg_hi:[0,1]
	v_pk_add_f32 v[22:23], v[22:23], v[64:65]
	v_pk_add_f32 v[24:25], v[24:25], v[26:27]
	v_pk_add_f32 v[2:3], v[2:3], v[36:37] op_sel:[0,1] op_sel_hi:[1,0]
	v_mov_b32_e32 v15, v9
	v_mov_b32_e32 v9, v5
	v_pk_add_f32 v[22:23], v[22:23], v[66:67]
	v_pk_add_f32 v[24:25], v[24:25], v[30:31]
	v_mov_b32_e32 v36, v6
	v_mov_b32_e32 v37, v3
	;; [unrolled: 1-line block ×3, first 2 shown]
	v_pk_fma_f32 v[4:5], v[40:41], s[0:1], v[8:9] op_sel_hi:[1,0,1]
	v_mov_b32_e32 v3, v7
	v_pk_add_f32 v[6:7], v[34:35], v[26:27]
	v_pk_add_f32 v[8:9], v[68:69], v[30:31] neg_lo:[0,1] neg_hi:[0,1]
	v_pk_fma_f32 v[14:15], v[40:41], s[0:1], v[14:15] op_sel_hi:[1,0,1]
	ds_write2_b64 v178, v[22:23], v[24:25] offset0:110 offset1:165
	v_pk_fma_f32 v[6:7], v[6:7], 0.5, v[10:11] op_sel_hi:[1,0,1] neg_lo:[1,0,0] neg_hi:[1,0,0]
	v_pk_mul_f32 v[22:23], v[8:9], s[8:9] op_sel_hi:[1,0]
	v_pk_add_f32 v[24:25], v[34:35], v[26:27] neg_lo:[0,1] neg_hi:[0,1]
	v_pk_add_f32 v[40:41], v[68:69], v[34:35] neg_lo:[0,1] neg_hi:[0,1]
	;; [unrolled: 1-line block ×3, first 2 shown]
	v_pk_fma_f32 v[36:37], v[38:39], s[0:1], v[36:37] op_sel_hi:[1,0,1]
	v_pk_fma_f32 v[2:3], v[38:39], s[0:1], v[2:3] op_sel_hi:[1,0,1]
	v_pk_mul_f32 v[38:39], v[24:25], s[12:13] op_sel_hi:[1,0]
	v_pk_add_f32 v[40:41], v[40:41], v[46:47]
	v_pk_add_f32 v[46:47], v[6:7], v[22:23] op_sel:[0,1] op_sel_hi:[1,0] neg_lo:[0,1] neg_hi:[0,1]
	v_pk_add_f32 v[6:7], v[6:7], v[22:23] op_sel:[0,1] op_sel_hi:[1,0]
	v_pk_add_f32 v[22:23], v[46:47], v[38:39] op_sel:[0,1] op_sel_hi:[1,0] neg_lo:[0,1] neg_hi:[0,1]
	v_pk_add_f32 v[6:7], v[6:7], v[38:39] op_sel:[0,1] op_sel_hi:[1,0]
	v_mov_b32_e32 v38, v22
	v_mov_b32_e32 v39, v7
	v_pk_fma_f32 v[38:39], v[40:41], s[0:1], v[38:39] op_sel_hi:[1,0,1]
	ds_write2_b64 v128, v[36:37], v[38:39] offset0:129 offset1:184
	v_pk_add_f32 v[36:37], v[68:69], v[30:31]
	v_pk_mul_f32 v[24:25], v[24:25], s[8:9] op_sel_hi:[1,0]
	v_pk_fma_f32 v[10:11], v[36:37], 0.5, v[10:11] op_sel_hi:[1,0,1] neg_lo:[1,0,0] neg_hi:[1,0,0]
	v_pk_add_f32 v[26:27], v[26:27], v[30:31] neg_lo:[0,1] neg_hi:[0,1]
	v_pk_mul_f32 v[8:9], v[8:9], s[12:13] op_sel_hi:[1,0]
	v_pk_add_f32 v[30:31], v[10:11], v[24:25] op_sel:[0,1] op_sel_hi:[1,0]
	v_pk_add_f32 v[10:11], v[10:11], v[24:25] op_sel:[0,1] op_sel_hi:[1,0] neg_lo:[0,1] neg_hi:[0,1]
	v_pk_add_f32 v[34:35], v[34:35], v[68:69] neg_lo:[0,1] neg_hi:[0,1]
	v_pk_add_f32 v[10:11], v[10:11], v[8:9] op_sel:[0,1] op_sel_hi:[1,0]
	v_pk_add_f32 v[8:9], v[30:31], v[8:9] op_sel:[0,1] op_sel_hi:[1,0] neg_lo:[0,1] neg_hi:[0,1]
	v_mov_b32_e32 v33, v13
	v_pk_add_f32 v[12:13], v[0:1], v[72:73]
	v_pk_add_f32 v[26:27], v[34:35], v[26:27]
	v_mov_b32_e32 v25, v11
	v_mov_b32_e32 v11, v9
	v_pk_add_f32 v[12:13], v[12:13], v[70:71]
	v_mov_b32_e32 v24, v8
	v_pk_fma_f32 v[8:9], v[26:27], s[0:1], v[10:11] op_sel_hi:[1,0,1]
	v_mov_b32_e32 v7, v23
	v_pk_add_f32 v[12:13], v[12:13], v[28:29]
	v_pk_fma_f32 v[24:25], v[26:27], s[0:1], v[24:25] op_sel_hi:[1,0,1]
	ds_write2_b64 v48, v[4:5], v[8:9] offset0:167 offset1:222
	v_pk_fma_f32 v[4:5], v[40:41], s[0:1], v[6:7] op_sel_hi:[1,0,1]
	v_pk_add_f32 v[12:13], v[12:13], v[32:33]
	ds_write2_b64 v44, v[14:15], v[24:25] offset0:148 offset1:203
	ds_write2_b64 v42, v[2:3], v[4:5] offset0:186 offset1:241
	ds_write_b64 v178, v[12:13] offset:1760
	v_pk_add_f32 v[2:3], v[70:71], v[28:29]
	v_pk_add_f32 v[4:5], v[72:73], v[32:33] neg_lo:[0,1] neg_hi:[0,1]
	v_pk_fma_f32 v[2:3], v[2:3], 0.5, v[0:1] op_sel_hi:[1,0,1] neg_lo:[1,0,0] neg_hi:[1,0,0]
	v_pk_mul_f32 v[6:7], v[4:5], s[8:9] op_sel_hi:[1,0]
	v_pk_add_f32 v[8:9], v[70:71], v[28:29] neg_lo:[0,1] neg_hi:[0,1]
	v_pk_add_f32 v[12:13], v[72:73], v[70:71] neg_lo:[0,1] neg_hi:[0,1]
	;; [unrolled: 1-line block ×3, first 2 shown]
	v_pk_mul_f32 v[10:11], v[8:9], s[12:13] op_sel_hi:[1,0]
	v_pk_add_f32 v[12:13], v[12:13], v[14:15]
	v_pk_add_f32 v[14:15], v[2:3], v[6:7] op_sel:[0,1] op_sel_hi:[1,0] neg_lo:[0,1] neg_hi:[0,1]
	v_pk_add_f32 v[2:3], v[2:3], v[6:7] op_sel:[0,1] op_sel_hi:[1,0]
	v_pk_add_f32 v[6:7], v[14:15], v[10:11] op_sel:[0,1] op_sel_hi:[1,0] neg_lo:[0,1] neg_hi:[0,1]
	v_pk_add_f32 v[2:3], v[2:3], v[10:11] op_sel:[0,1] op_sel_hi:[1,0]
	v_mov_b32_e32 v10, v6
	v_mov_b32_e32 v11, v3
	v_pk_fma_f32 v[10:11], v[12:13], s[0:1], v[10:11] op_sel_hi:[1,0,1]
	ds_write_b64 v178, v[10:11] offset:3960
	v_pk_add_f32 v[10:11], v[72:73], v[32:33]
	v_pk_add_f32 v[14:15], v[28:29], v[32:33] neg_lo:[0,1] neg_hi:[0,1]
	v_pk_fma_f32 v[0:1], v[10:11], 0.5, v[0:1] op_sel_hi:[1,0,1] neg_lo:[1,0,0] neg_hi:[1,0,0]
	v_pk_add_f32 v[10:11], v[70:71], v[72:73] neg_lo:[0,1] neg_hi:[0,1]
	v_pk_mul_f32 v[8:9], v[8:9], s[8:9] op_sel_hi:[1,0]
	v_pk_add_f32 v[10:11], v[10:11], v[14:15]
	v_pk_mul_f32 v[4:5], v[4:5], s[12:13] op_sel_hi:[1,0]
	v_pk_add_f32 v[14:15], v[0:1], v[8:9] op_sel:[0,1] op_sel_hi:[1,0]
	v_pk_add_f32 v[0:1], v[0:1], v[8:9] op_sel:[0,1] op_sel_hi:[1,0] neg_lo:[0,1] neg_hi:[0,1]
	v_mov_b32_e32 v3, v7
	v_pk_add_f32 v[0:1], v[0:1], v[4:5] op_sel:[0,1] op_sel_hi:[1,0]
	v_pk_add_f32 v[4:5], v[14:15], v[4:5] op_sel:[0,1] op_sel_hi:[1,0] neg_lo:[0,1] neg_hi:[0,1]
	v_mov_b32_e32 v9, v1
	v_mov_b32_e32 v1, v5
	;; [unrolled: 1-line block ×3, first 2 shown]
	v_pk_fma_f32 v[0:1], v[10:11], s[0:1], v[0:1] op_sel_hi:[1,0,1]
	v_pk_fma_f32 v[8:9], v[10:11], s[0:1], v[8:9] op_sel_hi:[1,0,1]
	ds_write_b64 v178, v[0:1] offset:8360
	v_pk_fma_f32 v[0:1], v[12:13], s[0:1], v[2:3] op_sel_hi:[1,0,1]
	ds_write_b64 v178, v[8:9] offset:6160
	ds_write_b64 v178, v[0:1] offset:10560
	s_waitcnt lgkmcnt(0)
	; wave barrier
	s_waitcnt lgkmcnt(0)
	ds_read2_b64 v[0:3], v178 offset1:55
	v_accvgpr_read_b32 v6, a40
	v_mad_u64_u32 v[4:5], s[0:1], s7, v138, v[20:21]
	v_accvgpr_read_b32 v7, a41
	v_mov_b32_e32 v19, v4
	s_waitcnt lgkmcnt(0)
	v_mul_f32_e32 v4, v7, v1
	v_fmac_f32_e32 v4, v6, v0
	v_mul_f32_e32 v0, v7, v0
	s_mov_b32 s0, 0x4a19b16e
	v_fma_f32 v0, v6, v1, -v0
	v_accvgpr_read_b32 v41, a120            ;  Reload Reuse
	v_cvt_f64_f32_e32 v[4:5], v4
	s_mov_b32 s1, 0x3f47d4ce
	v_cvt_f64_f32_e32 v[0:1], v0
	v_accvgpr_read_b32 v40, a122            ;  Reload Reuse
	v_mul_f64 v[4:5], v[4:5], s[0:1]
	v_mul_f64 v[0:1], v[0:1], s[0:1]
	v_mad_u64_u32 v[10:11], s[6:7], s4, v40, 0
	v_cvt_f32_f64_e32 v8, v[4:5]
	v_cvt_f32_f64_e32 v9, v[0:1]
	v_mov_b32_e32 v0, v11
	ds_read2_b64 v[4:7], v178 offset0:125 offset1:180
	v_mad_u64_u32 v[0:1], s[6:7], s5, v40, v[0:1]
	v_mov_b32_e32 v11, v0
	v_lshl_add_u64 v[0:1], v[18:19], 3, v[16:17]
	v_lshl_add_u64 v[12:13], v[10:11], 3, v[0:1]
	v_accvgpr_read_b32 v10, a34
	v_accvgpr_read_b32 v11, a35
	global_store_dwordx2 v[12:13], v[8:9], off
	s_waitcnt lgkmcnt(0)
	v_mul_f32_e32 v8, v11, v5
	v_fmac_f32_e32 v8, v10, v4
	v_cvt_f64_f32_e32 v[8:9], v8
	v_mul_f32_e32 v4, v11, v4
	v_mul_f64 v[8:9], v[8:9], s[0:1]
	v_fma_f32 v4, v10, v5, -v4
	s_mul_i32 s6, s5, 0x7d
	s_mul_hi_u32 s7, s4, 0x7d
	v_cvt_f32_f64_e32 v14, v[8:9]
	v_cvt_f64_f32_e32 v[4:5], v4
	s_add_i32 s7, s7, s6
	ds_read2_b64 v[8:11], v21 offset0:122 offset1:177
	s_mul_i32 s6, s4, 0x7d
	v_mul_f64 v[4:5], v[4:5], s[0:1]
	s_lshl_b64 s[6:7], s[6:7], 3
	v_cvt_f32_f64_e32 v15, v[4:5]
	v_lshl_add_u64 v[4:5], v[12:13], 0, s[6:7]
	global_store_dwordx2 v[4:5], v[14:15], off
	v_accvgpr_read_b32 v14, a32
	v_accvgpr_read_b32 v15, a33
	s_waitcnt lgkmcnt(0)
	v_mul_f32_e32 v12, v15, v9
	v_fmac_f32_e32 v12, v14, v8
	v_cvt_f64_f32_e32 v[12:13], v12
	v_mul_f32_e32 v8, v15, v8
	v_mul_f64 v[12:13], v[12:13], s[0:1]
	v_fma_f32 v8, v14, v9, -v8
	v_cvt_f32_f64_e32 v16, v[12:13]
	v_cvt_f64_f32_e32 v[8:9], v8
	ds_read2_b64 v[12:15], v128 offset0:119 offset1:174
	v_mul_f64 v[8:9], v[8:9], s[0:1]
	v_cvt_f32_f64_e32 v17, v[8:9]
	v_lshl_add_u64 v[4:5], v[4:5], 0, s[6:7]
	global_store_dwordx2 v[4:5], v[16:17], off
	v_accvgpr_read_b32 v16, a26
	v_accvgpr_read_b32 v17, a27
	s_waitcnt lgkmcnt(0)
	v_mul_f32_e32 v8, v17, v13
	v_fmac_f32_e32 v8, v16, v12
	v_cvt_f64_f32_e32 v[8:9], v8
	v_mul_f64 v[8:9], v[8:9], s[0:1]
	v_cvt_f32_f64_e32 v8, v[8:9]
	v_mul_f32_e32 v9, v17, v12
	v_fma_f32 v9, v16, v13, -v9
	v_cvt_f64_f32_e32 v[12:13], v9
	v_add_u32_e32 v9, 0xc00, v178
	ds_read2_b64 v[16:19], v9 offset0:116 offset1:171
	v_mul_f64 v[12:13], v[12:13], s[0:1]
	v_cvt_f32_f64_e32 v9, v[12:13]
	v_accvgpr_read_b32 v12, a24
	v_lshl_add_u64 v[4:5], v[4:5], 0, s[6:7]
	v_accvgpr_read_b32 v13, a25
	global_store_dwordx2 v[4:5], v[8:9], off
	s_waitcnt lgkmcnt(0)
	v_mul_f32_e32 v8, v13, v17
	v_fmac_f32_e32 v8, v12, v16
	v_cvt_f64_f32_e32 v[8:9], v8
	v_mul_f64 v[8:9], v[8:9], s[0:1]
	v_cvt_f32_f64_e32 v8, v[8:9]
	v_mul_f32_e32 v9, v13, v16
	v_fma_f32 v9, v12, v17, -v9
	ds_read2_b64 v[20:23], v44 offset0:113 offset1:168
	v_cvt_f64_f32_e32 v[12:13], v9
	v_mul_f64 v[12:13], v[12:13], s[0:1]
	v_cvt_f32_f64_e32 v9, v[12:13]
	v_accvgpr_read_b32 v12, a38
	v_lshl_add_u64 v[4:5], v[4:5], 0, s[6:7]
	v_accvgpr_read_b32 v13, a39
	global_store_dwordx2 v[4:5], v[8:9], off
	s_waitcnt lgkmcnt(0)
	v_mul_f32_e32 v8, v13, v21
	v_fmac_f32_e32 v8, v12, v20
	v_cvt_f64_f32_e32 v[8:9], v8
	v_mul_f64 v[8:9], v[8:9], s[0:1]
	v_cvt_f32_f64_e32 v8, v[8:9]
	v_mul_f32_e32 v9, v13, v20
	v_fma_f32 v9, v12, v21, -v9
	v_cvt_f64_f32_e32 v[12:13], v9
	v_add_u32_e32 v9, 0x1400, v178
	ds_read2_b64 v[24:27], v9 offset0:110 offset1:165
	v_mul_f64 v[12:13], v[12:13], s[0:1]
	v_cvt_f32_f64_e32 v9, v[12:13]
	v_accvgpr_read_b32 v12, a46
	v_lshl_add_u64 v[4:5], v[4:5], 0, s[6:7]
	v_accvgpr_read_b32 v13, a47
	global_store_dwordx2 v[4:5], v[8:9], off
	s_waitcnt lgkmcnt(0)
	v_mul_f32_e32 v8, v13, v25
	v_fmac_f32_e32 v8, v12, v24
	v_cvt_f64_f32_e32 v[8:9], v8
	v_mul_f64 v[8:9], v[8:9], s[0:1]
	v_cvt_f32_f64_e32 v8, v[8:9]
	v_mul_f32_e32 v9, v13, v24
	v_fma_f32 v9, v12, v25, -v9
	ds_read2_b64 v[28:31], v48 offset0:107 offset1:162
	v_cvt_f64_f32_e32 v[12:13], v9
	v_mul_f64 v[12:13], v[12:13], s[0:1]
	v_cvt_f32_f64_e32 v9, v[12:13]
	v_accvgpr_read_b32 v12, a44
	v_lshl_add_u64 v[4:5], v[4:5], 0, s[6:7]
	v_accvgpr_read_b32 v13, a45
	global_store_dwordx2 v[4:5], v[8:9], off
	s_waitcnt lgkmcnt(0)
	v_mul_f32_e32 v8, v13, v29
	v_fmac_f32_e32 v8, v12, v28
	v_cvt_f64_f32_e32 v[8:9], v8
	v_mul_f64 v[8:9], v[8:9], s[0:1]
	v_cvt_f32_f64_e32 v8, v[8:9]
	v_mul_f32_e32 v9, v13, v28
	v_fma_f32 v9, v12, v29, -v9
	ds_read2_b64 v[32:35], v129 offset0:104 offset1:159
	v_cvt_f64_f32_e32 v[12:13], v9
	;; [unrolled: 16-line block ×3, first 2 shown]
	v_mul_f64 v[12:13], v[12:13], s[0:1]
	v_cvt_f32_f64_e32 v9, v[12:13]
	v_accvgpr_read_b32 v12, a36
	v_lshl_add_u64 v[4:5], v[4:5], 0, s[6:7]
	v_accvgpr_read_b32 v13, a37
	global_store_dwordx2 v[4:5], v[8:9], off
	s_waitcnt lgkmcnt(0)
	v_mul_f32_e32 v8, v13, v37
	v_fmac_f32_e32 v8, v12, v36
	v_cvt_f64_f32_e32 v[8:9], v8
	v_mul_f64 v[8:9], v[8:9], s[0:1]
	v_cvt_f32_f64_e32 v8, v[8:9]
	v_mul_f32_e32 v9, v13, v36
	v_fma_f32 v9, v12, v37, -v9
	v_cvt_f64_f32_e32 v[12:13], v9
	v_add_u32_e32 v9, 0x2400, v178
	ds_read2_b64 v[50:53], v9 offset0:98 offset1:153
	v_mul_f64 v[12:13], v[12:13], s[0:1]
	v_cvt_f32_f64_e32 v9, v[12:13]
	v_accvgpr_read_b32 v12, a30
	v_lshl_add_u64 v[4:5], v[4:5], 0, s[6:7]
	v_accvgpr_read_b32 v13, a31
	global_store_dwordx2 v[4:5], v[8:9], off
	s_waitcnt lgkmcnt(0)
	v_mul_f32_e32 v8, v13, v51
	v_fmac_f32_e32 v8, v12, v50
	v_cvt_f64_f32_e32 v[8:9], v8
	v_mul_f64 v[8:9], v[8:9], s[0:1]
	v_cvt_f32_f64_e32 v8, v[8:9]
	v_mul_f32_e32 v9, v13, v50
	v_fma_f32 v9, v12, v51, -v9
	v_cvt_f64_f32_e32 v[12:13], v9
	v_mul_f64 v[12:13], v[12:13], s[0:1]
	v_cvt_f32_f64_e32 v9, v[12:13]
	v_lshl_add_u64 v[4:5], v[4:5], 0, s[6:7]
	v_accvgpr_read_b32 v13, a9
	global_store_dwordx2 v[4:5], v[8:9], off
	v_accvgpr_read_b32 v12, a8
	v_mul_f32_e32 v8, v13, v3
	v_fmac_f32_e32 v8, v12, v2
	v_mul_f32_e32 v2, v13, v2
	v_fma_f32 v2, v12, v3, -v2
	s_mul_hi_u32 s9, s4, 0xfffffb55
	v_cvt_f64_f32_e32 v[8:9], v8
	v_cvt_f64_f32_e32 v[2:3], v2
	s_mul_i32 s8, s5, 0xfffffb55
	s_sub_i32 s9, s9, s4
	v_mul_f64 v[8:9], v[8:9], s[0:1]
	v_mul_f64 v[2:3], v[2:3], s[0:1]
	s_add_i32 s9, s9, s8
	s_mul_i32 s8, s4, 0xfffffb55
	v_cvt_f32_f64_e32 v8, v[8:9]
	v_cvt_f32_f64_e32 v9, v[2:3]
	v_lshl_add_u64 v[2:3], s[8:9], 3, v[4:5]
	global_store_dwordx2 v[2:3], v[8:9], off
	v_accvgpr_read_b32 v9, a5
	v_accvgpr_read_b32 v8, a4
	v_mul_f32_e32 v4, v9, v7
	v_fmac_f32_e32 v4, v8, v6
	v_cvt_f64_f32_e32 v[4:5], v4
	v_mul_f64 v[4:5], v[4:5], s[0:1]
	v_cvt_f32_f64_e32 v4, v[4:5]
	v_mul_f32_e32 v5, v9, v6
	v_fma_f32 v5, v8, v7, -v5
	v_cvt_f64_f32_e32 v[6:7], v5
	v_mul_f64 v[6:7], v[6:7], s[0:1]
	v_cvt_f32_f64_e32 v5, v[6:7]
	v_accvgpr_read_b32 v6, a6
	v_lshl_add_u64 v[2:3], v[2:3], 0, s[6:7]
	v_accvgpr_read_b32 v7, a7
	global_store_dwordx2 v[2:3], v[4:5], off
	v_mul_f32_e32 v4, v7, v11
	v_fmac_f32_e32 v4, v6, v10
	v_cvt_f64_f32_e32 v[4:5], v4
	v_mul_f64 v[4:5], v[4:5], s[0:1]
	v_cvt_f32_f64_e32 v4, v[4:5]
	v_mul_f32_e32 v5, v7, v10
	v_fma_f32 v5, v6, v11, -v5
	v_cvt_f64_f32_e32 v[6:7], v5
	v_mul_f64 v[6:7], v[6:7], s[0:1]
	v_cvt_f32_f64_e32 v5, v[6:7]
	v_lshl_add_u64 v[2:3], v[2:3], 0, s[6:7]
	v_accvgpr_read_b32 v7, a3
	global_store_dwordx2 v[2:3], v[4:5], off
	v_accvgpr_read_b32 v6, a2
	v_mul_f32_e32 v4, v7, v15
	v_fmac_f32_e32 v4, v6, v14
	v_cvt_f64_f32_e32 v[4:5], v4
	v_mul_f64 v[4:5], v[4:5], s[0:1]
	v_cvt_f32_f64_e32 v4, v[4:5]
	v_mul_f32_e32 v5, v7, v14
	v_fma_f32 v5, v6, v15, -v5
	v_cvt_f64_f32_e32 v[6:7], v5
	v_mul_f64 v[6:7], v[6:7], s[0:1]
	v_cvt_f32_f64_e32 v5, v[6:7]
	v_accvgpr_read_b32 v6, a22
	v_lshl_add_u64 v[2:3], v[2:3], 0, s[6:7]
	v_accvgpr_read_b32 v7, a23
	global_store_dwordx2 v[2:3], v[4:5], off
	v_mul_f32_e32 v4, v7, v19
	v_fmac_f32_e32 v4, v6, v18
	v_cvt_f64_f32_e32 v[4:5], v4
	v_mul_f64 v[4:5], v[4:5], s[0:1]
	v_cvt_f32_f64_e32 v4, v[4:5]
	v_mul_f32_e32 v5, v7, v18
	v_fma_f32 v5, v6, v19, -v5
	v_cvt_f64_f32_e32 v[6:7], v5
	v_mul_f64 v[6:7], v[6:7], s[0:1]
	v_cvt_f32_f64_e32 v5, v[6:7]
	v_accvgpr_read_b32 v6, a14
	v_lshl_add_u64 v[2:3], v[2:3], 0, s[6:7]
	v_accvgpr_read_b32 v7, a15
	global_store_dwordx2 v[2:3], v[4:5], off
	v_mul_f32_e32 v4, v7, v23
	v_fmac_f32_e32 v4, v6, v22
	v_cvt_f64_f32_e32 v[4:5], v4
	v_mul_f64 v[4:5], v[4:5], s[0:1]
	v_cvt_f32_f64_e32 v4, v[4:5]
	v_mul_f32_e32 v5, v7, v22
	v_fma_f32 v5, v6, v23, -v5
	v_cvt_f64_f32_e32 v[6:7], v5
	v_mul_f64 v[6:7], v[6:7], s[0:1]
	v_cvt_f32_f64_e32 v5, v[6:7]
	v_accvgpr_read_b32 v6, a20
	v_lshl_add_u64 v[2:3], v[2:3], 0, s[6:7]
	v_accvgpr_read_b32 v7, a21
	global_store_dwordx2 v[2:3], v[4:5], off
	v_mul_f32_e32 v4, v7, v27
	v_fmac_f32_e32 v4, v6, v26
	v_cvt_f64_f32_e32 v[4:5], v4
	v_mul_f64 v[4:5], v[4:5], s[0:1]
	v_cvt_f32_f64_e32 v4, v[4:5]
	v_mul_f32_e32 v5, v7, v26
	v_fma_f32 v5, v6, v27, -v5
	v_cvt_f64_f32_e32 v[6:7], v5
	v_mul_f64 v[6:7], v[6:7], s[0:1]
	v_cvt_f32_f64_e32 v5, v[6:7]
	v_accvgpr_read_b32 v6, a12
	v_lshl_add_u64 v[2:3], v[2:3], 0, s[6:7]
	v_accvgpr_read_b32 v7, a13
	global_store_dwordx2 v[2:3], v[4:5], off
	v_mul_f32_e32 v4, v7, v31
	v_fmac_f32_e32 v4, v6, v30
	v_cvt_f64_f32_e32 v[4:5], v4
	v_mul_f64 v[4:5], v[4:5], s[0:1]
	v_cvt_f32_f64_e32 v4, v[4:5]
	v_mul_f32_e32 v5, v7, v30
	v_fma_f32 v5, v6, v31, -v5
	v_cvt_f64_f32_e32 v[6:7], v5
	v_mul_f64 v[6:7], v[6:7], s[0:1]
	v_cvt_f32_f64_e32 v5, v[6:7]
	v_accvgpr_read_b32 v6, a18
	v_lshl_add_u64 v[2:3], v[2:3], 0, s[6:7]
	v_accvgpr_read_b32 v7, a19
	global_store_dwordx2 v[2:3], v[4:5], off
	v_mul_f32_e32 v4, v7, v35
	v_fmac_f32_e32 v4, v6, v34
	v_cvt_f64_f32_e32 v[4:5], v4
	v_mul_f64 v[4:5], v[4:5], s[0:1]
	v_cvt_f32_f64_e32 v4, v[4:5]
	v_mul_f32_e32 v5, v7, v34
	v_fma_f32 v5, v6, v35, -v5
	v_cvt_f64_f32_e32 v[6:7], v5
	v_mul_f64 v[6:7], v[6:7], s[0:1]
	v_cvt_f32_f64_e32 v5, v[6:7]
	v_accvgpr_read_b32 v6, a10
	v_lshl_add_u64 v[2:3], v[2:3], 0, s[6:7]
	v_accvgpr_read_b32 v7, a11
	global_store_dwordx2 v[2:3], v[4:5], off
	v_mul_f32_e32 v4, v7, v39
	v_fmac_f32_e32 v4, v6, v38
	v_cvt_f64_f32_e32 v[4:5], v4
	v_mul_f64 v[4:5], v[4:5], s[0:1]
	v_cvt_f32_f64_e32 v4, v[4:5]
	v_mul_f32_e32 v5, v7, v38
	v_fma_f32 v5, v6, v39, -v5
	v_cvt_f64_f32_e32 v[6:7], v5
	v_mul_f64 v[6:7], v[6:7], s[0:1]
	v_cvt_f32_f64_e32 v5, v[6:7]
	v_accvgpr_read_b32 v6, a16
	v_lshl_add_u64 v[2:3], v[2:3], 0, s[6:7]
	v_accvgpr_read_b32 v7, a17
	global_store_dwordx2 v[2:3], v[4:5], off
	v_mul_f32_e32 v4, v7, v53
	v_fmac_f32_e32 v4, v6, v52
	v_cvt_f64_f32_e32 v[4:5], v4
	v_mul_f64 v[4:5], v[4:5], s[0:1]
	v_cvt_f32_f64_e32 v4, v[4:5]
	v_mul_f32_e32 v5, v7, v52
	v_fma_f32 v5, v6, v53, -v5
	v_cvt_f64_f32_e32 v[6:7], v5
	v_mul_f64 v[6:7], v[6:7], s[0:1]
	v_cvt_f32_f64_e32 v5, v[6:7]
	v_lshl_add_u64 v[2:3], v[2:3], 0, s[6:7]
	global_store_dwordx2 v[2:3], v[4:5], off
	s_and_b64 exec, exec, vcc
	s_cbranch_execz .LBB0_15
; %bb.14:
	v_accvgpr_read_b32 v15, a1
	v_accvgpr_read_b32 v14, a0
	global_load_dwordx2 v[8:9], v[14:15], off offset:880
	ds_read2_b64 v[4:7], v178 offset0:110 offset1:235
	v_lshl_add_u64 v[2:3], s[8:9], 3, v[2:3]
	s_waitcnt vmcnt(0) lgkmcnt(0)
	v_mul_f32_e32 v10, v5, v9
	v_mul_f32_e32 v9, v4, v9
	v_fmac_f32_e32 v10, v4, v8
	v_fma_f32 v8, v8, v5, -v9
	v_cvt_f64_f32_e32 v[4:5], v10
	v_cvt_f64_f32_e32 v[8:9], v8
	v_mul_f64 v[4:5], v[4:5], s[0:1]
	v_mul_f64 v[8:9], v[8:9], s[0:1]
	v_cvt_f32_f64_e32 v4, v[4:5]
	v_cvt_f32_f64_e32 v5, v[8:9]
	global_store_dwordx2 v[2:3], v[4:5], off
	global_load_dwordx2 v[4:5], v[14:15], off offset:1880
	v_lshl_add_u64 v[8:9], v[2:3], 0, s[6:7]
	s_waitcnt vmcnt(0)
	v_mul_f32_e32 v2, v7, v5
	v_mul_f32_e32 v3, v6, v5
	v_fmac_f32_e32 v2, v6, v4
	v_fma_f32 v4, v4, v7, -v3
	v_cvt_f64_f32_e32 v[2:3], v2
	v_cvt_f64_f32_e32 v[4:5], v4
	v_mul_f64 v[2:3], v[2:3], s[0:1]
	v_mul_f64 v[4:5], v[4:5], s[0:1]
	v_cvt_f32_f64_e32 v2, v[2:3]
	v_cvt_f32_f64_e32 v3, v[4:5]
	global_store_dwordx2 v[8:9], v[2:3], off
	global_load_dwordx2 v[6:7], v[14:15], off offset:2880
	ds_read2_b64 v[2:5], v128 offset0:104 offset1:229
	v_lshl_add_u64 v[8:9], v[8:9], 0, s[6:7]
	s_waitcnt vmcnt(0) lgkmcnt(0)
	v_mul_f32_e32 v10, v3, v7
	v_mul_f32_e32 v7, v2, v7
	v_fmac_f32_e32 v10, v2, v6
	v_fma_f32 v6, v6, v3, -v7
	v_cvt_f64_f32_e32 v[2:3], v10
	v_cvt_f64_f32_e32 v[6:7], v6
	v_mul_f64 v[2:3], v[2:3], s[0:1]
	v_mul_f64 v[6:7], v[6:7], s[0:1]
	v_cvt_f32_f64_e32 v2, v[2:3]
	v_cvt_f32_f64_e32 v3, v[6:7]
	global_store_dwordx2 v[8:9], v[2:3], off
	global_load_dwordx2 v[2:3], v[14:15], off offset:3880
	v_add_co_u32_e32 v6, vcc, s11, v14
	v_lshl_add_u64 v[8:9], v[8:9], 0, s[6:7]
	s_nop 0
	v_addc_co_u32_e32 v7, vcc, 0, v15, vcc
	s_waitcnt vmcnt(0)
	v_mul_f32_e32 v10, v5, v3
	v_mul_f32_e32 v3, v4, v3
	v_fmac_f32_e32 v10, v4, v2
	v_fma_f32 v4, v2, v5, -v3
	v_cvt_f64_f32_e32 v[2:3], v10
	v_cvt_f64_f32_e32 v[4:5], v4
	v_mul_f64 v[2:3], v[2:3], s[0:1]
	v_mul_f64 v[4:5], v[4:5], s[0:1]
	v_cvt_f32_f64_e32 v2, v[2:3]
	v_cvt_f32_f64_e32 v3, v[4:5]
	global_store_dwordx2 v[8:9], v[2:3], off
	global_load_dwordx2 v[10:11], v[6:7], off offset:784
	ds_read2_b64 v[2:5], v44 offset0:98 offset1:223
	v_lshl_add_u64 v[8:9], v[8:9], 0, s[6:7]
	s_waitcnt vmcnt(0) lgkmcnt(0)
	v_mul_f32_e32 v12, v3, v11
	v_mul_f32_e32 v11, v2, v11
	v_fmac_f32_e32 v12, v2, v10
	v_fma_f32 v10, v10, v3, -v11
	v_cvt_f64_f32_e32 v[2:3], v12
	v_cvt_f64_f32_e32 v[10:11], v10
	v_mul_f64 v[2:3], v[2:3], s[0:1]
	v_mul_f64 v[10:11], v[10:11], s[0:1]
	v_cvt_f32_f64_e32 v2, v[2:3]
	v_cvt_f32_f64_e32 v3, v[10:11]
	global_store_dwordx2 v[8:9], v[2:3], off
	global_load_dwordx2 v[2:3], v[6:7], off offset:1784
	v_lshl_add_u64 v[8:9], v[8:9], 0, s[6:7]
	s_waitcnt vmcnt(0)
	v_mul_f32_e32 v10, v5, v3
	v_mul_f32_e32 v3, v4, v3
	v_fmac_f32_e32 v10, v4, v2
	v_fma_f32 v4, v2, v5, -v3
	v_cvt_f64_f32_e32 v[2:3], v10
	v_cvt_f64_f32_e32 v[4:5], v4
	v_mul_f64 v[2:3], v[2:3], s[0:1]
	v_mul_f64 v[4:5], v[4:5], s[0:1]
	v_cvt_f32_f64_e32 v2, v[2:3]
	v_cvt_f32_f64_e32 v3, v[4:5]
	global_store_dwordx2 v[8:9], v[2:3], off
	global_load_dwordx2 v[10:11], v[6:7], off offset:2784
	ds_read2_b64 v[2:5], v48 offset0:92 offset1:217
	v_lshl_add_u64 v[8:9], v[8:9], 0, s[6:7]
	s_waitcnt vmcnt(0) lgkmcnt(0)
	v_mul_f32_e32 v12, v3, v11
	v_mul_f32_e32 v11, v2, v11
	v_fmac_f32_e32 v12, v2, v10
	v_fma_f32 v10, v10, v3, -v11
	v_cvt_f64_f32_e32 v[2:3], v12
	v_cvt_f64_f32_e32 v[10:11], v10
	v_mul_f64 v[2:3], v[2:3], s[0:1]
	v_mul_f64 v[10:11], v[10:11], s[0:1]
	v_cvt_f32_f64_e32 v2, v[2:3]
	v_cvt_f32_f64_e32 v3, v[10:11]
	global_store_dwordx2 v[8:9], v[2:3], off
	global_load_dwordx2 v[2:3], v[6:7], off offset:3784
	v_add_co_u32_e32 v6, vcc, s10, v14
	v_lshl_add_u64 v[8:9], v[8:9], 0, s[6:7]
	s_nop 0
	v_addc_co_u32_e32 v7, vcc, 0, v15, vcc
	s_waitcnt vmcnt(0)
	v_mul_f32_e32 v10, v5, v3
	v_mul_f32_e32 v3, v4, v3
	v_fmac_f32_e32 v10, v4, v2
	v_fma_f32 v4, v2, v5, -v3
	v_cvt_f64_f32_e32 v[2:3], v10
	v_cvt_f64_f32_e32 v[4:5], v4
	v_mul_f64 v[2:3], v[2:3], s[0:1]
	v_mul_f64 v[4:5], v[4:5], s[0:1]
	v_cvt_f32_f64_e32 v2, v[2:3]
	v_cvt_f32_f64_e32 v3, v[4:5]
	global_store_dwordx2 v[8:9], v[2:3], off
	global_load_dwordx2 v[10:11], v[6:7], off offset:688
	ds_read2_b64 v[2:5], v42 offset0:86 offset1:211
	v_lshl_add_u64 v[8:9], v[8:9], 0, s[6:7]
	s_waitcnt vmcnt(0) lgkmcnt(0)
	v_mul_f32_e32 v12, v3, v11
	v_mul_f32_e32 v11, v2, v11
	v_fmac_f32_e32 v12, v2, v10
	v_fma_f32 v10, v10, v3, -v11
	v_cvt_f64_f32_e32 v[2:3], v12
	v_cvt_f64_f32_e32 v[10:11], v10
	v_mul_f64 v[2:3], v[2:3], s[0:1]
	v_mul_f64 v[10:11], v[10:11], s[0:1]
	v_cvt_f32_f64_e32 v2, v[2:3]
	v_cvt_f32_f64_e32 v3, v[10:11]
	global_store_dwordx2 v[8:9], v[2:3], off
	global_load_dwordx2 v[2:3], v[6:7], off offset:1688
	v_lshl_add_u64 v[6:7], v[8:9], 0, s[6:7]
	v_or_b32_e32 v10, 0x550, v40
	v_lshlrev_b32_e32 v11, 3, v10
	s_waitcnt vmcnt(0)
	v_mul_f32_e32 v8, v5, v3
	v_mul_f32_e32 v3, v4, v3
	v_fmac_f32_e32 v8, v4, v2
	v_fma_f32 v4, v2, v5, -v3
	v_cvt_f64_f32_e32 v[2:3], v8
	v_cvt_f64_f32_e32 v[4:5], v4
	v_mul_f64 v[2:3], v[2:3], s[0:1]
	v_mul_f64 v[4:5], v[4:5], s[0:1]
	v_cvt_f32_f64_e32 v2, v[2:3]
	v_cvt_f32_f64_e32 v3, v[4:5]
	global_store_dwordx2 v[6:7], v[2:3], off
	global_load_dwordx2 v[2:3], v11, s[2:3]
	ds_read_b64 v[4:5], v178 offset:10880
	v_mad_u64_u32 v[6:7], s[2:3], s4, v10, 0
	v_mov_b32_e32 v8, v7
	v_mad_u64_u32 v[8:9], s[2:3], s5, v10, v[8:9]
	v_mov_b32_e32 v7, v8
	v_lshl_add_u64 v[0:1], v[6:7], 3, v[0:1]
	s_waitcnt vmcnt(0) lgkmcnt(0)
	v_mul_f32_e32 v8, v5, v3
	v_mul_f32_e32 v3, v4, v3
	v_fmac_f32_e32 v8, v4, v2
	v_fma_f32 v4, v2, v5, -v3
	v_cvt_f64_f32_e32 v[2:3], v8
	v_cvt_f64_f32_e32 v[4:5], v4
	v_mul_f64 v[2:3], v[2:3], s[0:1]
	v_mul_f64 v[4:5], v[4:5], s[0:1]
	v_cvt_f32_f64_e32 v2, v[2:3]
	v_cvt_f32_f64_e32 v3, v[4:5]
	global_store_dwordx2 v[0:1], v[2:3], off
.LBB0_15:
	s_endpgm
	.section	.rodata,"a",@progbits
	.p2align	6, 0x0
	.amdhsa_kernel bluestein_single_fwd_len1375_dim1_sp_op_CI_CI
		.amdhsa_group_segment_fixed_size 11000
		.amdhsa_private_segment_fixed_size 0
		.amdhsa_kernarg_size 104
		.amdhsa_user_sgpr_count 2
		.amdhsa_user_sgpr_dispatch_ptr 0
		.amdhsa_user_sgpr_queue_ptr 0
		.amdhsa_user_sgpr_kernarg_segment_ptr 1
		.amdhsa_user_sgpr_dispatch_id 0
		.amdhsa_user_sgpr_kernarg_preload_length 0
		.amdhsa_user_sgpr_kernarg_preload_offset 0
		.amdhsa_user_sgpr_private_segment_size 0
		.amdhsa_uses_dynamic_stack 0
		.amdhsa_enable_private_segment 0
		.amdhsa_system_sgpr_workgroup_id_x 1
		.amdhsa_system_sgpr_workgroup_id_y 0
		.amdhsa_system_sgpr_workgroup_id_z 0
		.amdhsa_system_sgpr_workgroup_info 0
		.amdhsa_system_vgpr_workitem_id 0
		.amdhsa_next_free_vgpr 386
		.amdhsa_next_free_sgpr 48
		.amdhsa_accum_offset 256
		.amdhsa_reserve_vcc 1
		.amdhsa_float_round_mode_32 0
		.amdhsa_float_round_mode_16_64 0
		.amdhsa_float_denorm_mode_32 3
		.amdhsa_float_denorm_mode_16_64 3
		.amdhsa_dx10_clamp 1
		.amdhsa_ieee_mode 1
		.amdhsa_fp16_overflow 0
		.amdhsa_tg_split 0
		.amdhsa_exception_fp_ieee_invalid_op 0
		.amdhsa_exception_fp_denorm_src 0
		.amdhsa_exception_fp_ieee_div_zero 0
		.amdhsa_exception_fp_ieee_overflow 0
		.amdhsa_exception_fp_ieee_underflow 0
		.amdhsa_exception_fp_ieee_inexact 0
		.amdhsa_exception_int_div_zero 0
	.end_amdhsa_kernel
	.text
.Lfunc_end0:
	.size	bluestein_single_fwd_len1375_dim1_sp_op_CI_CI, .Lfunc_end0-bluestein_single_fwd_len1375_dim1_sp_op_CI_CI
                                        ; -- End function
	.section	.AMDGPU.csdata,"",@progbits
; Kernel info:
; codeLenInByte = 34220
; NumSgprs: 54
; NumVgprs: 256
; NumAgprs: 130
; TotalNumVgprs: 386
; ScratchSize: 0
; MemoryBound: 0
; FloatMode: 240
; IeeeMode: 1
; LDSByteSize: 11000 bytes/workgroup (compile time only)
; SGPRBlocks: 6
; VGPRBlocks: 48
; NumSGPRsForWavesPerEU: 54
; NumVGPRsForWavesPerEU: 386
; AccumOffset: 256
; Occupancy: 1
; WaveLimiterHint : 1
; COMPUTE_PGM_RSRC2:SCRATCH_EN: 0
; COMPUTE_PGM_RSRC2:USER_SGPR: 2
; COMPUTE_PGM_RSRC2:TRAP_HANDLER: 0
; COMPUTE_PGM_RSRC2:TGID_X_EN: 1
; COMPUTE_PGM_RSRC2:TGID_Y_EN: 0
; COMPUTE_PGM_RSRC2:TGID_Z_EN: 0
; COMPUTE_PGM_RSRC2:TIDIG_COMP_CNT: 0
; COMPUTE_PGM_RSRC3_GFX90A:ACCUM_OFFSET: 63
; COMPUTE_PGM_RSRC3_GFX90A:TG_SPLIT: 0
	.text
	.p2alignl 6, 3212836864
	.fill 256, 4, 3212836864
	.type	__hip_cuid_a1195fba2e6955bc,@object ; @__hip_cuid_a1195fba2e6955bc
	.section	.bss,"aw",@nobits
	.globl	__hip_cuid_a1195fba2e6955bc
__hip_cuid_a1195fba2e6955bc:
	.byte	0                               ; 0x0
	.size	__hip_cuid_a1195fba2e6955bc, 1

	.ident	"AMD clang version 19.0.0git (https://github.com/RadeonOpenCompute/llvm-project roc-6.4.0 25133 c7fe45cf4b819c5991fe208aaa96edf142730f1d)"
	.section	".note.GNU-stack","",@progbits
	.addrsig
	.addrsig_sym __hip_cuid_a1195fba2e6955bc
	.amdgpu_metadata
---
amdhsa.kernels:
  - .agpr_count:     130
    .args:
      - .actual_access:  read_only
        .address_space:  global
        .offset:         0
        .size:           8
        .value_kind:     global_buffer
      - .actual_access:  read_only
        .address_space:  global
        .offset:         8
        .size:           8
        .value_kind:     global_buffer
      - .actual_access:  read_only
        .address_space:  global
        .offset:         16
        .size:           8
        .value_kind:     global_buffer
      - .actual_access:  read_only
        .address_space:  global
        .offset:         24
        .size:           8
        .value_kind:     global_buffer
      - .actual_access:  read_only
        .address_space:  global
        .offset:         32
        .size:           8
        .value_kind:     global_buffer
      - .offset:         40
        .size:           8
        .value_kind:     by_value
      - .address_space:  global
        .offset:         48
        .size:           8
        .value_kind:     global_buffer
      - .address_space:  global
        .offset:         56
        .size:           8
        .value_kind:     global_buffer
      - .address_space:  global
        .offset:         64
        .size:           8
        .value_kind:     global_buffer
      - .address_space:  global
        .offset:         72
        .size:           8
        .value_kind:     global_buffer
      - .offset:         80
        .size:           4
        .value_kind:     by_value
      - .address_space:  global
        .offset:         88
        .size:           8
        .value_kind:     global_buffer
      - .address_space:  global
        .offset:         96
        .size:           8
        .value_kind:     global_buffer
    .group_segment_fixed_size: 11000
    .kernarg_segment_align: 8
    .kernarg_segment_size: 104
    .language:       OpenCL C
    .language_version:
      - 2
      - 0
    .max_flat_workgroup_size: 55
    .name:           bluestein_single_fwd_len1375_dim1_sp_op_CI_CI
    .private_segment_fixed_size: 0
    .sgpr_count:     54
    .sgpr_spill_count: 0
    .symbol:         bluestein_single_fwd_len1375_dim1_sp_op_CI_CI.kd
    .uniform_work_group_size: 1
    .uses_dynamic_stack: false
    .vgpr_count:     386
    .vgpr_spill_count: 2
    .wavefront_size: 64
amdhsa.target:   amdgcn-amd-amdhsa--gfx950
amdhsa.version:
  - 1
  - 2
...

	.end_amdgpu_metadata
